;; amdgpu-corpus repo=ROCm/rocFFT kind=compiled arch=gfx906 opt=O3
	.text
	.amdgcn_target "amdgcn-amd-amdhsa--gfx906"
	.amdhsa_code_object_version 6
	.protected	fft_rtc_fwd_len1430_factors_13_11_10_wgs_143_tpt_143_half_op_CI_CI_unitstride_sbrr_R2C_dirReg ; -- Begin function fft_rtc_fwd_len1430_factors_13_11_10_wgs_143_tpt_143_half_op_CI_CI_unitstride_sbrr_R2C_dirReg
	.globl	fft_rtc_fwd_len1430_factors_13_11_10_wgs_143_tpt_143_half_op_CI_CI_unitstride_sbrr_R2C_dirReg
	.p2align	8
	.type	fft_rtc_fwd_len1430_factors_13_11_10_wgs_143_tpt_143_half_op_CI_CI_unitstride_sbrr_R2C_dirReg,@function
fft_rtc_fwd_len1430_factors_13_11_10_wgs_143_tpt_143_half_op_CI_CI_unitstride_sbrr_R2C_dirReg: ; @fft_rtc_fwd_len1430_factors_13_11_10_wgs_143_tpt_143_half_op_CI_CI_unitstride_sbrr_R2C_dirReg
; %bb.0:
	s_load_dwordx4 s[8:11], s[4:5], 0x58
	s_load_dwordx4 s[12:15], s[4:5], 0x0
	;; [unrolled: 1-line block ×3, first 2 shown]
	v_mul_u32_u24_e32 v1, 0x1cb, v0
	v_mov_b32_e32 v8, 0
	v_mov_b32_e32 v6, 0
	s_waitcnt lgkmcnt(0)
	v_cmp_lt_u64_e64 s[0:1], s[14:15], 2
	v_add_u32_sdwa v10, s6, v1 dst_sel:DWORD dst_unused:UNUSED_PAD src0_sel:DWORD src1_sel:WORD_1
	v_mov_b32_e32 v11, v8
	s_and_b64 vcc, exec, s[0:1]
	v_mov_b32_e32 v7, 0
	s_cbranch_vccnz .LBB0_8
; %bb.1:
	s_load_dwordx2 s[0:1], s[4:5], 0x10
	s_add_u32 s2, s18, 8
	s_addc_u32 s3, s19, 0
	s_add_u32 s6, s16, 8
	s_addc_u32 s7, s17, 0
	v_mov_b32_e32 v6, 0
	s_waitcnt lgkmcnt(0)
	s_add_u32 s20, s0, 8
	v_mov_b32_e32 v7, 0
	v_mov_b32_e32 v1, v6
	s_addc_u32 s21, s1, 0
	s_mov_b64 s[22:23], 1
	v_mov_b32_e32 v2, v7
.LBB0_2:                                ; =>This Inner Loop Header: Depth=1
	s_load_dwordx2 s[24:25], s[20:21], 0x0
                                        ; implicit-def: $vgpr3_vgpr4
	s_waitcnt lgkmcnt(0)
	v_or_b32_e32 v9, s25, v11
	v_cmp_ne_u64_e32 vcc, 0, v[8:9]
	s_and_saveexec_b64 s[0:1], vcc
	s_xor_b64 s[26:27], exec, s[0:1]
	s_cbranch_execz .LBB0_4
; %bb.3:                                ;   in Loop: Header=BB0_2 Depth=1
	v_cvt_f32_u32_e32 v3, s24
	v_cvt_f32_u32_e32 v4, s25
	s_sub_u32 s0, 0, s24
	s_subb_u32 s1, 0, s25
	v_mac_f32_e32 v3, 0x4f800000, v4
	v_rcp_f32_e32 v3, v3
	v_mul_f32_e32 v3, 0x5f7ffffc, v3
	v_mul_f32_e32 v4, 0x2f800000, v3
	v_trunc_f32_e32 v4, v4
	v_mac_f32_e32 v3, 0xcf800000, v4
	v_cvt_u32_f32_e32 v4, v4
	v_cvt_u32_f32_e32 v3, v3
	v_mul_lo_u32 v5, s0, v4
	v_mul_hi_u32 v9, s0, v3
	v_mul_lo_u32 v13, s1, v3
	v_mul_lo_u32 v12, s0, v3
	v_add_u32_e32 v5, v9, v5
	v_add_u32_e32 v5, v5, v13
	v_mul_hi_u32 v9, v3, v12
	v_mul_lo_u32 v13, v3, v5
	v_mul_hi_u32 v15, v3, v5
	v_mul_hi_u32 v14, v4, v12
	v_mul_lo_u32 v12, v4, v12
	v_mul_hi_u32 v16, v4, v5
	v_add_co_u32_e32 v9, vcc, v9, v13
	v_addc_co_u32_e32 v13, vcc, 0, v15, vcc
	v_mul_lo_u32 v5, v4, v5
	v_add_co_u32_e32 v9, vcc, v9, v12
	v_addc_co_u32_e32 v9, vcc, v13, v14, vcc
	v_addc_co_u32_e32 v12, vcc, 0, v16, vcc
	v_add_co_u32_e32 v5, vcc, v9, v5
	v_addc_co_u32_e32 v9, vcc, 0, v12, vcc
	v_add_co_u32_e32 v3, vcc, v3, v5
	v_addc_co_u32_e32 v4, vcc, v4, v9, vcc
	v_mul_lo_u32 v5, s0, v4
	v_mul_hi_u32 v9, s0, v3
	v_mul_lo_u32 v12, s1, v3
	v_mul_lo_u32 v13, s0, v3
	v_add_u32_e32 v5, v9, v5
	v_add_u32_e32 v5, v5, v12
	v_mul_lo_u32 v14, v3, v5
	v_mul_hi_u32 v15, v3, v13
	v_mul_hi_u32 v16, v3, v5
	v_mul_hi_u32 v12, v4, v13
	v_mul_lo_u32 v13, v4, v13
	v_mul_hi_u32 v9, v4, v5
	v_add_co_u32_e32 v14, vcc, v15, v14
	v_addc_co_u32_e32 v15, vcc, 0, v16, vcc
	v_mul_lo_u32 v5, v4, v5
	v_add_co_u32_e32 v13, vcc, v14, v13
	v_addc_co_u32_e32 v12, vcc, v15, v12, vcc
	v_addc_co_u32_e32 v9, vcc, 0, v9, vcc
	v_add_co_u32_e32 v5, vcc, v12, v5
	v_addc_co_u32_e32 v9, vcc, 0, v9, vcc
	v_add_co_u32_e32 v5, vcc, v3, v5
	v_addc_co_u32_e32 v9, vcc, v4, v9, vcc
	v_mad_u64_u32 v[3:4], s[0:1], v10, v9, 0
	v_mul_hi_u32 v12, v10, v5
	v_add_co_u32_e32 v14, vcc, v12, v3
	v_addc_co_u32_e32 v15, vcc, 0, v4, vcc
	v_mad_u64_u32 v[3:4], s[0:1], v11, v5, 0
	v_mad_u64_u32 v[12:13], s[0:1], v11, v9, 0
	v_add_co_u32_e32 v3, vcc, v14, v3
	v_addc_co_u32_e32 v3, vcc, v15, v4, vcc
	v_addc_co_u32_e32 v4, vcc, 0, v13, vcc
	v_add_co_u32_e32 v5, vcc, v3, v12
	v_addc_co_u32_e32 v9, vcc, 0, v4, vcc
	v_mul_lo_u32 v12, s25, v5
	v_mul_lo_u32 v13, s24, v9
	v_mad_u64_u32 v[3:4], s[0:1], s24, v5, 0
	v_add3_u32 v4, v4, v13, v12
	v_sub_u32_e32 v12, v11, v4
	v_mov_b32_e32 v13, s25
	v_sub_co_u32_e32 v3, vcc, v10, v3
	v_subb_co_u32_e64 v12, s[0:1], v12, v13, vcc
	v_subrev_co_u32_e64 v13, s[0:1], s24, v3
	v_subbrev_co_u32_e64 v12, s[0:1], 0, v12, s[0:1]
	v_cmp_le_u32_e64 s[0:1], s25, v12
	v_cndmask_b32_e64 v14, 0, -1, s[0:1]
	v_cmp_le_u32_e64 s[0:1], s24, v13
	v_cndmask_b32_e64 v13, 0, -1, s[0:1]
	v_cmp_eq_u32_e64 s[0:1], s25, v12
	v_cndmask_b32_e64 v12, v14, v13, s[0:1]
	v_add_co_u32_e64 v13, s[0:1], 2, v5
	v_addc_co_u32_e64 v14, s[0:1], 0, v9, s[0:1]
	v_add_co_u32_e64 v15, s[0:1], 1, v5
	v_addc_co_u32_e64 v16, s[0:1], 0, v9, s[0:1]
	v_subb_co_u32_e32 v4, vcc, v11, v4, vcc
	v_cmp_ne_u32_e64 s[0:1], 0, v12
	v_cmp_le_u32_e32 vcc, s25, v4
	v_cndmask_b32_e64 v12, v16, v14, s[0:1]
	v_cndmask_b32_e64 v14, 0, -1, vcc
	v_cmp_le_u32_e32 vcc, s24, v3
	v_cndmask_b32_e64 v3, 0, -1, vcc
	v_cmp_eq_u32_e32 vcc, s25, v4
	v_cndmask_b32_e32 v3, v14, v3, vcc
	v_cmp_ne_u32_e32 vcc, 0, v3
	v_cndmask_b32_e64 v3, v15, v13, s[0:1]
	v_cndmask_b32_e32 v4, v9, v12, vcc
	v_cndmask_b32_e32 v3, v5, v3, vcc
.LBB0_4:                                ;   in Loop: Header=BB0_2 Depth=1
	s_andn2_saveexec_b64 s[0:1], s[26:27]
	s_cbranch_execz .LBB0_6
; %bb.5:                                ;   in Loop: Header=BB0_2 Depth=1
	v_cvt_f32_u32_e32 v3, s24
	s_sub_i32 s26, 0, s24
	v_rcp_iflag_f32_e32 v3, v3
	v_mul_f32_e32 v3, 0x4f7ffffe, v3
	v_cvt_u32_f32_e32 v3, v3
	v_mul_lo_u32 v4, s26, v3
	v_mul_hi_u32 v4, v3, v4
	v_add_u32_e32 v3, v3, v4
	v_mul_hi_u32 v3, v10, v3
	v_mul_lo_u32 v4, v3, s24
	v_add_u32_e32 v5, 1, v3
	v_sub_u32_e32 v4, v10, v4
	v_subrev_u32_e32 v9, s24, v4
	v_cmp_le_u32_e32 vcc, s24, v4
	v_cndmask_b32_e32 v4, v4, v9, vcc
	v_cndmask_b32_e32 v3, v3, v5, vcc
	v_add_u32_e32 v5, 1, v3
	v_cmp_le_u32_e32 vcc, s24, v4
	v_cndmask_b32_e32 v3, v3, v5, vcc
	v_mov_b32_e32 v4, v8
.LBB0_6:                                ;   in Loop: Header=BB0_2 Depth=1
	s_or_b64 exec, exec, s[0:1]
	v_mul_lo_u32 v5, v4, s24
	v_mul_lo_u32 v9, v3, s25
	v_mad_u64_u32 v[12:13], s[0:1], v3, s24, 0
	s_load_dwordx2 s[0:1], s[6:7], 0x0
	s_load_dwordx2 s[24:25], s[2:3], 0x0
	v_add3_u32 v5, v13, v9, v5
	v_sub_co_u32_e32 v9, vcc, v10, v12
	v_subb_co_u32_e32 v5, vcc, v11, v5, vcc
	s_waitcnt lgkmcnt(0)
	v_mul_lo_u32 v10, s0, v5
	v_mul_lo_u32 v11, s1, v9
	v_mad_u64_u32 v[6:7], s[0:1], s0, v9, v[6:7]
	s_add_u32 s22, s22, 1
	s_addc_u32 s23, s23, 0
	s_add_u32 s2, s2, 8
	v_mul_lo_u32 v5, s24, v5
	v_mul_lo_u32 v12, s25, v9
	v_mad_u64_u32 v[1:2], s[0:1], s24, v9, v[1:2]
	v_add3_u32 v7, v11, v7, v10
	s_addc_u32 s3, s3, 0
	v_mov_b32_e32 v9, s14
	s_add_u32 s6, s6, 8
	v_mov_b32_e32 v10, s15
	s_addc_u32 s7, s7, 0
	v_cmp_ge_u64_e32 vcc, s[22:23], v[9:10]
	s_add_u32 s20, s20, 8
	v_add3_u32 v2, v12, v2, v5
	s_addc_u32 s21, s21, 0
	s_cbranch_vccnz .LBB0_9
; %bb.7:                                ;   in Loop: Header=BB0_2 Depth=1
	v_mov_b32_e32 v11, v4
	v_mov_b32_e32 v10, v3
	s_branch .LBB0_2
.LBB0_8:
	v_mov_b32_e32 v1, v6
	v_mov_b32_e32 v3, v10
	;; [unrolled: 1-line block ×4, first 2 shown]
.LBB0_9:
	s_load_dwordx2 s[4:5], s[4:5], 0x28
	s_lshl_b64 s[6:7], s[14:15], 3
	s_add_u32 s2, s18, s6
	s_addc_u32 s3, s19, s7
                                        ; implicit-def: $vgpr5
	s_waitcnt lgkmcnt(0)
	v_cmp_gt_u64_e64 s[0:1], s[4:5], v[3:4]
	v_cmp_le_u64_e32 vcc, s[4:5], v[3:4]
	s_and_saveexec_b64 s[4:5], vcc
	s_xor_b64 s[4:5], exec, s[4:5]
; %bb.10:
	s_mov_b32 s14, 0x1ca4b31
	v_mul_hi_u32 v5, v0, s14
                                        ; implicit-def: $vgpr6_vgpr7
	v_mul_u32_u24_e32 v5, 0x8f, v5
	v_sub_u32_e32 v5, v0, v5
                                        ; implicit-def: $vgpr0
; %bb.11:
	s_andn2_saveexec_b64 s[4:5], s[4:5]
	s_cbranch_execz .LBB0_13
; %bb.12:
	s_add_u32 s6, s16, s6
	s_addc_u32 s7, s17, s7
	s_load_dwordx2 s[6:7], s[6:7], 0x0
	s_mov_b32 s14, 0x1ca4b31
	v_mul_hi_u32 v5, v0, s14
	v_lshlrev_b64 v[6:7], 2, v[6:7]
	s_waitcnt lgkmcnt(0)
	v_mul_lo_u32 v10, s7, v3
	v_mul_lo_u32 v11, s6, v4
	v_mad_u64_u32 v[8:9], s[6:7], s6, v3, 0
	v_mul_u32_u24_e32 v5, 0x8f, v5
	v_sub_u32_e32 v5, v0, v5
	v_add3_u32 v9, v9, v11, v10
	v_lshlrev_b64 v[8:9], 2, v[8:9]
	v_mov_b32_e32 v0, s9
	v_add_co_u32_e32 v8, vcc, s8, v8
	v_addc_co_u32_e32 v0, vcc, v0, v9, vcc
	v_add_co_u32_e32 v6, vcc, v8, v6
	v_addc_co_u32_e32 v0, vcc, v0, v7, vcc
	v_lshlrev_b32_e32 v8, 2, v5
	v_add_co_u32_e32 v6, vcc, v6, v8
	v_addc_co_u32_e32 v7, vcc, 0, v0, vcc
	global_load_dword v0, v[6:7], off
	global_load_dword v9, v[6:7], off offset:572
	global_load_dword v10, v[6:7], off offset:1144
	;; [unrolled: 1-line block ×7, first 2 shown]
	v_add_co_u32_e32 v6, vcc, 0x1000, v6
	v_addc_co_u32_e32 v7, vcc, 0, v7, vcc
	global_load_dword v16, v[6:7], off offset:480
	global_load_dword v17, v[6:7], off offset:1052
	v_add_u32_e32 v6, 0, v8
	v_add_u32_e32 v7, 0x400, v6
	;; [unrolled: 1-line block ×4, first 2 shown]
	s_waitcnt vmcnt(8)
	ds_write2_b32 v6, v0, v9 offset1:143
	s_waitcnt vmcnt(6)
	ds_write2_b32 v7, v10, v11 offset0:30 offset1:173
	s_waitcnt vmcnt(4)
	ds_write2_b32 v8, v12, v13 offset0:60 offset1:203
	;; [unrolled: 2-line block ×3, first 2 shown]
	v_add_u32_e32 v0, 0x1100, v6
	s_waitcnt vmcnt(0)
	ds_write2_b32 v0, v16, v17 offset0:56 offset1:199
.LBB0_13:
	s_or_b64 exec, exec, s[4:5]
	v_lshl_add_u32 v0, v5, 2, 0
	v_add_u32_e32 v8, 0x600, v0
	s_waitcnt lgkmcnt(0)
	s_barrier
	v_add_u32_e32 v6, 0x200, v0
	ds_read2_b32 v[10:11], v8 offset0:56 offset1:166
	v_add_u32_e32 v8, 0xa00, v0
	v_add_u32_e32 v14, 0xc00, v0
	ds_read2_b32 v[6:7], v6 offset0:92 offset1:202
	ds_read2_b32 v[12:13], v8 offset0:20 offset1:130
	ds_read2_b32 v[8:9], v0 offset1:110
	ds_read2_b32 v[14:15], v14 offset0:112 offset1:222
	v_add_u32_e32 v16, 0x1000, v0
	ds_read2_b32 v[19:20], v16 offset0:76 offset1:186
	ds_read_b32 v29, v0 offset:5280
	s_mov_b32 s22, 0xb770
	s_waitcnt lgkmcnt(3)
	v_pk_add_f16 v16, v8, v9
	v_pk_add_f16 v16, v16, v6
	;; [unrolled: 1-line block ×7, first 2 shown]
	s_waitcnt lgkmcnt(2)
	v_pk_add_f16 v16, v16, v14
	v_pk_add_f16 v16, v16, v15
	s_waitcnt lgkmcnt(0)
	v_pk_add_f16 v38, v9, v29 neg_lo:[0,1] neg_hi:[0,1]
	v_pk_add_f16 v16, v16, v19
	v_pk_add_f16 v17, v6, v20 neg_lo:[0,1] neg_hi:[0,1]
	v_pk_add_f16 v37, v29, v9
	s_movk_i32 s8, 0x3b15
	v_mul_f16_sdwa v22, v38, s22 dst_sel:DWORD dst_unused:UNUSED_PAD src0_sel:WORD_1 src1_sel:DWORD
	s_mov_b32 s21, 0xba95
	v_pk_add_f16 v30, v16, v20
	v_pk_add_f16 v16, v20, v6
	;; [unrolled: 1-line block ×3, first 2 shown]
	v_pk_add_f16 v19, v7, v19 neg_lo:[0,1] neg_hi:[0,1]
	v_fma_f16 v6, v37, s8, -v22
	s_movk_i32 s7, 0x388b
	v_mul_f16_sdwa v23, v17, s21 dst_sel:DWORD dst_unused:UNUSED_PAD src0_sel:WORD_1 src1_sel:DWORD
	s_mov_b32 s19, 0xbbf1
	v_pk_add_f16 v21, v10, v15 neg_lo:[0,1] neg_hi:[0,1]
	v_add_f16_e32 v6, v8, v6
	v_fma_f16 v7, v16, s7, -v23
	s_movk_i32 s6, 0x2fb7
	v_mul_f16_sdwa v24, v19, s19 dst_sel:DWORD dst_unused:UNUSED_PAD src0_sel:WORD_1 src1_sel:DWORD
	s_mov_b32 s4, 0xbb7b
	v_pk_add_f16 v20, v15, v10
	v_pk_add_f16 v28, v11, v14 neg_lo:[0,1] neg_hi:[0,1]
	v_add_f16_e32 v6, v7, v6
	v_fma_f16 v7, v18, s6, -v24
	s_mov_b32 s9, 0xb5ac
	v_mul_f16_sdwa v25, v21, s4 dst_sel:DWORD dst_unused:UNUSED_PAD src0_sel:WORD_1 src1_sel:DWORD
	s_mov_b32 s5, 0xb94e
	v_pk_add_f16 v27, v14, v11
	v_add_f16_e32 v6, v7, v6
	v_fma_f16 v7, v20, s9, -v25
	s_mov_b32 s14, 0xb9fd
	v_mul_f16_sdwa v26, v28, s5 dst_sel:DWORD dst_unused:UNUSED_PAD src0_sel:WORD_1 src1_sel:DWORD
	v_pk_add_f16 v46, v12, v13 neg_lo:[0,1] neg_hi:[0,1]
	s_mov_b32 s15, 0xb3a8
	v_add_f16_e32 v6, v7, v6
	v_fma_f16 v7, v27, s14, -v26
	v_pk_add_f16 v45, v13, v12
	s_mov_b32 s17, 0xbbc4
	v_mul_f16_sdwa v36, v46, s15 dst_sel:DWORD dst_unused:UNUSED_PAD src0_sel:WORD_1 src1_sel:DWORD
	v_add_f16_e32 v7, v7, v6
	v_fma_f16 v9, v45, s17, -v36
	v_mul_f16_sdwa v40, v38, s21 dst_sel:DWORD dst_unused:UNUSED_PAD src0_sel:WORD_1 src1_sel:DWORD
	v_add_f16_e32 v7, v9, v7
	v_fma_f16 v9, v37, s7, -v40
	v_mul_f16_sdwa v41, v17, s4 dst_sel:DWORD dst_unused:UNUSED_PAD src0_sel:WORD_1 src1_sel:DWORD
	v_add_f16_e32 v9, v8, v9
	v_fma_f16 v10, v16, s9, -v41
	v_mul_f16_sdwa v42, v19, s15 dst_sel:DWORD dst_unused:UNUSED_PAD src0_sel:WORD_1 src1_sel:DWORD
	s_movk_i32 s23, 0x394e
	v_add_f16_e32 v9, v10, v9
	v_fma_f16 v10, v18, s17, -v42
	v_mul_f16_sdwa v43, v21, s23 dst_sel:DWORD dst_unused:UNUSED_PAD src0_sel:WORD_1 src1_sel:DWORD
	s_movk_i32 s16, 0x3bf1
	v_add_f16_e32 v9, v10, v9
	v_fma_f16 v10, v20, s14, -v43
	v_mul_f16_sdwa v44, v28, s16 dst_sel:DWORD dst_unused:UNUSED_PAD src0_sel:WORD_1 src1_sel:DWORD
	v_add_f16_e32 v9, v10, v9
	v_fma_f16 v10, v27, s6, -v44
	v_add_f16_e32 v9, v10, v9
	v_pk_mul_f16 v10, v38, s19 op_sel_hi:[1,0]
	v_pk_add_f16 v6, v30, v29
	v_pk_fma_f16 v15, v37, s6, v10 op_sel:[0,0,1] op_sel_hi:[1,0,0] neg_lo:[0,0,1] neg_hi:[0,0,1]
	v_pk_fma_f16 v29, v37, s6, v10 op_sel:[0,0,1] op_sel_hi:[1,0,0]
	s_mov_b32 s20, 0xffff
	v_pk_mul_f16 v10, v17, s15 op_sel_hi:[1,0]
	v_pk_fma_f16 v30, v16, s17, v10 op_sel:[0,0,1] op_sel_hi:[1,0,0] neg_lo:[0,0,1] neg_hi:[0,0,1]
	v_pk_fma_f16 v31, v16, s17, v10 op_sel:[0,0,1] op_sel_hi:[1,0,0]
	v_bfi_b32 v10, s20, v15, v29
	v_pk_add_f16 v10, v8, v10
	v_bfi_b32 v11, s20, v30, v31
	s_movk_i32 s18, 0x3b7b
	v_pk_add_f16 v10, v11, v10
	v_pk_mul_f16 v11, v19, s18 op_sel_hi:[1,0]
	v_pk_fma_f16 v32, v18, s9, v11 op_sel:[0,0,1] op_sel_hi:[1,0,0] neg_lo:[0,0,1] neg_hi:[0,0,1]
	v_pk_fma_f16 v33, v18, s9, v11 op_sel:[0,0,1] op_sel_hi:[1,0,0]
	v_bfi_b32 v11, s20, v32, v33
	s_movk_i32 s18, 0x3770
	v_pk_add_f16 v10, v11, v10
	v_pk_mul_f16 v11, v21, s18 op_sel_hi:[1,0]
	v_pk_fma_f16 v34, v20, s8, v11 op_sel:[0,0,1] op_sel_hi:[1,0,0] neg_lo:[0,0,1] neg_hi:[0,0,1]
	v_pk_fma_f16 v35, v20, s8, v11 op_sel:[0,0,1] op_sel_hi:[1,0,0]
	v_bfi_b32 v11, s20, v34, v35
	v_pk_add_f16 v10, v11, v10
	v_pk_mul_f16 v11, v28, s21 op_sel_hi:[1,0]
	v_pk_fma_f16 v39, v27, s7, v11 op_sel:[0,0,1] op_sel_hi:[1,0,0] neg_lo:[0,0,1] neg_hi:[0,0,1]
	v_pk_fma_f16 v47, v27, s7, v11 op_sel:[0,0,1] op_sel_hi:[1,0,0]
	v_bfi_b32 v11, s20, v39, v47
	v_mul_f16_sdwa v48, v46, s18 dst_sel:DWORD dst_unused:UNUSED_PAD src0_sel:WORD_1 src1_sel:DWORD
	v_pk_add_f16 v10, v11, v10
	v_fma_f16 v11, v45, s8, -v48
	v_add_f16_e32 v9, v11, v9
	v_pk_mul_f16 v11, v46, s5 op_sel_hi:[1,0]
	v_pk_fma_f16 v61, v45, s14, v11 op_sel:[0,0,1] op_sel_hi:[1,0,0] neg_lo:[0,0,1] neg_hi:[0,0,1]
	v_pk_fma_f16 v62, v45, s14, v11 op_sel:[0,0,1] op_sel_hi:[1,0,0]
	v_bfi_b32 v11, s20, v61, v62
	v_mul_f16_sdwa v13, v38, s4 dst_sel:DWORD dst_unused:UNUSED_PAD src0_sel:WORD_1 src1_sel:DWORD
	v_pk_add_f16 v10, v11, v10
	v_fma_f16 v11, v37, s9, -v13
	v_mul_f16_sdwa v14, v17, s23 dst_sel:DWORD dst_unused:UNUSED_PAD src0_sel:WORD_1 src1_sel:DWORD
	v_add_f16_e32 v11, v8, v11
	v_fma_f16 v12, v16, s14, -v14
	v_mul_f16_sdwa v49, v38, s5 dst_sel:DWORD dst_unused:UNUSED_PAD src0_sel:WORD_1 src1_sel:DWORD
	v_add_f16_e32 v11, v12, v11
	;; [unrolled: 3-line block ×3, first 2 shown]
	v_fma_f16 v51, v16, s6, -v50
	v_add_f16_e32 v12, v51, v12
	v_mul_f16_sdwa v51, v19, s18 dst_sel:DWORD dst_unused:UNUSED_PAD src0_sel:WORD_1 src1_sel:DWORD
	v_fma_f16 v52, v18, s8, -v51
	v_add_f16_e32 v11, v52, v11
	v_mul_f16_sdwa v52, v19, s21 dst_sel:DWORD dst_unused:UNUSED_PAD src0_sel:WORD_1 src1_sel:DWORD
	;; [unrolled: 3-line block ×3, first 2 shown]
	v_fma_f16 v13, v37, s9, v13
	v_fma_f16 v54, v20, s6, -v53
	s_movk_i32 s24, 0x33a8
	v_add_f16_e32 v13, v8, v13
	v_fma_f16 v14, v16, s14, v14
	v_add_f16_e32 v11, v54, v11
	v_mul_f16_sdwa v54, v21, s24 dst_sel:DWORD dst_unused:UNUSED_PAD src0_sel:WORD_1 src1_sel:DWORD
	v_add_f16_e32 v13, v14, v13
	v_fma_f16 v14, v37, s14, v49
	v_fma_f16 v55, v20, s17, -v54
	v_add_f16_e32 v14, v8, v14
	v_fma_f16 v49, v16, s6, v50
	v_add_f16_e32 v12, v55, v12
	v_mul_f16_sdwa v55, v28, s24 dst_sel:DWORD dst_unused:UNUSED_PAD src0_sel:WORD_1 src1_sel:DWORD
	v_add_f16_e32 v14, v49, v14
	v_fma_f16 v49, v18, s8, v51
	v_fma_f16 v56, v27, s17, -v55
	;; [unrolled: 7-line block ×3, first 2 shown]
	s_movk_i32 s24, 0x3a95
	v_add_f16_e32 v13, v49, v13
	v_fma_f16 v49, v20, s17, v54
	v_add_f16_e32 v12, v57, v12
	v_mul_f16_sdwa v57, v46, s24 dst_sel:DWORD dst_unused:UNUSED_PAD src0_sel:WORD_1 src1_sel:DWORD
	v_add_f16_e32 v14, v49, v14
	v_fma_f16 v49, v27, s17, v55
	v_fma_f16 v58, v45, s7, -v57
	v_add_f16_e32 v13, v49, v13
	v_fma_f16 v49, v27, s8, v56
	v_add_f16_e32 v11, v58, v11
	v_mul_f16_sdwa v58, v46, s4 dst_sel:DWORD dst_unused:UNUSED_PAD src0_sel:WORD_1 src1_sel:DWORD
	v_add_f16_e32 v49, v49, v14
	v_fma_f16 v14, v45, s7, v57
	v_add_f16_e32 v14, v14, v13
	v_fma_f16 v13, v45, s9, v58
	v_bfi_b32 v15, s20, v29, v15
	v_lshrrev_b32_e32 v29, 16, v37
	v_add_f16_e32 v13, v13, v49
	v_mul_f16_e32 v49, 0x3b15, v29
	v_fma_f16 v50, v38, s22, v49
	v_lshrrev_b32_e32 v54, 16, v16
	v_add_f16_sdwa v51, v8, v50 dst_sel:DWORD dst_unused:UNUSED_PAD src0_sel:WORD_1 src1_sel:DWORD
	v_mul_f16_e32 v50, 0x388b, v54
	v_fma_f16 v52, v17, s21, v50
	v_add_f16_e32 v55, v52, v51
	v_mul_f16_e32 v51, 0xbb7b, v38
	v_fma_f16 v56, v29, s9, v51
	v_bfi_b32 v30, s20, v31, v30
	v_pk_add_f16 v15, v8, v15
	v_mul_f16_e32 v31, 0x394e, v17
	v_fma_f16 v51, v29, s9, -v51
	v_mul_f16_e32 v52, 0xb94e, v38
	v_pk_add_f16 v15, v30, v15
	v_add_f16_sdwa v30, v8, v56 dst_sel:DWORD dst_unused:UNUSED_PAD src0_sel:WORD_1 src1_sel:DWORD
	v_fma_f16 v56, v54, s14, v31
	v_fma_f16 v57, v29, s14, v52
	v_add_f16_e32 v30, v56, v30
	v_add_f16_sdwa v51, v8, v51 dst_sel:DWORD dst_unused:UNUSED_PAD src0_sel:WORD_1 src1_sel:DWORD
	v_fma_f16 v31, v54, s14, -v31
	v_mul_f16_e32 v56, 0x3bf1, v17
	v_fma_f16 v59, v45, s9, -v58
	v_fma_f16 v58, v29, s14, -v52
	v_add_f16_e32 v31, v31, v51
	v_add_f16_sdwa v51, v8, v57 dst_sel:DWORD dst_unused:UNUSED_PAD src0_sel:WORD_1 src1_sel:DWORD
	v_fma_f16 v57, v54, s6, v56
	v_bfi_b32 v32, s20, v33, v32
	v_mul_f16_e32 v53, 0xb5ac, v54
	v_add_f16_e32 v57, v57, v51
	v_fma_f16 v51, v54, s6, -v56
	v_add_f16_sdwa v54, v8, v58 dst_sel:DWORD dst_unused:UNUSED_PAD src0_sel:WORD_1 src1_sel:DWORD
	v_lshrrev_b32_e32 v56, 16, v18
	v_pk_add_f16 v15, v32, v15
	v_mul_f16_e32 v32, 0x3770, v19
	v_add_f16_e32 v54, v51, v54
	v_mul_f16_e32 v51, 0x2fb7, v56
	v_fma_f16 v33, v56, s8, v32
	v_fma_f16 v32, v56, s8, -v32
	v_fma_f16 v58, v19, s19, v51
	v_add_f16_e32 v31, v32, v31
	v_mul_f16_e32 v32, 0xba95, v19
	v_bfi_b32 v34, s20, v35, v34
	v_add_f16_e32 v58, v58, v55
	v_mul_f16_e32 v55, 0xbbc4, v56
	v_add_f16_e32 v30, v33, v30
	v_fma_f16 v33, v56, s7, v32
	v_fma_f16 v32, v56, s7, -v32
	v_lshrrev_b32_e32 v56, 16, v20
	v_pk_add_f16 v15, v34, v15
	v_mul_f16_e32 v34, 0xbbf1, v21
	v_mul_f16_e32 v52, 0x388b, v29
	v_fma_f16 v35, v56, s6, v34
	v_fma_f16 v34, v56, s6, -v34
	v_fma_f16 v29, v38, s21, v52
	v_add_f16_e32 v32, v32, v54
	v_mul_f16_e32 v54, 0xb5ac, v56
	v_add_f16_e32 v31, v34, v31
	v_mul_f16_e32 v34, 0x33a8, v21
	v_add_f16_e32 v12, v59, v12
	v_add_f16_sdwa v29, v8, v29 dst_sel:DWORD dst_unused:UNUSED_PAD src0_sel:WORD_1 src1_sel:DWORD
	v_fma_f16 v59, v17, s4, v53
	v_add_f16_e32 v33, v33, v57
	v_fma_f16 v57, v21, s4, v54
	v_add_f16_e32 v30, v35, v30
	v_fma_f16 v35, v56, s17, v34
	v_fma_f16 v34, v56, s17, -v34
	v_add_f16_e32 v29, v59, v29
	v_fma_f16 v59, v19, s15, v55
	v_add_f16_e32 v58, v57, v58
	v_mul_f16_e32 v57, 0xb9fd, v56
	v_add_f16_e32 v32, v34, v32
	v_lshrrev_b32_e32 v34, 16, v27
	v_add_f16_e32 v29, v59, v29
	v_fma_f16 v59, v21, s23, v57
	v_mul_f16_e32 v56, 0xb9fd, v34
	v_add_f16_e32 v29, v59, v29
	v_add_f16_e32 v33, v35, v33
	v_fma_f16 v35, v28, s5, v56
	v_mul_f16_e32 v59, 0x2fb7, v34
	v_add_f16_e32 v35, v35, v58
	v_fma_f16 v58, v28, s16, v59
	v_add_f16_e32 v63, v58, v29
	v_bfi_b32 v29, s20, v47, v39
	v_pk_add_f16 v15, v29, v15
	v_mul_f16_e32 v29, 0x33a8, v28
	v_fma_f16 v39, v34, s17, v29
	v_fma_f16 v29, v34, s17, -v29
	v_add_f16_e32 v30, v39, v30
	v_add_f16_e32 v39, v29, v31
	v_mul_f16_e32 v29, 0x3770, v28
	v_lshrrev_b32_e32 v65, 16, v45
	v_fma_f16 v31, v34, s8, v29
	v_mul_f16_e32 v60, 0x3b15, v65
	v_add_f16_e32 v47, v31, v33
	v_fma_f16 v29, v34, s8, -v29
	v_fma_f16 v31, v46, s18, v60
	v_add_f16_e32 v64, v29, v32
	v_add_f16_e32 v32, v31, v63
	v_bfi_b32 v31, s20, v62, v61
	v_pk_add_f16 v31, v31, v15
	v_mul_f16_e32 v15, 0x3a95, v46
	v_fma_f16 v33, v65, s7, v15
	v_fma_f16 v15, v65, s7, -v15
	v_mul_f16_e32 v58, 0xbbc4, v65
	v_add_f16_e32 v34, v33, v30
	v_add_f16_e32 v33, v15, v39
	v_mul_f16_e32 v15, 0xbb7b, v46
	v_fma_f16 v29, v46, s15, v58
	v_fma_f16 v30, v65, s9, v15
	v_fma_f16 v15, v65, s9, -v15
	v_add_f16_e32 v29, v29, v35
	v_add_f16_e32 v35, v30, v47
	;; [unrolled: 1-line block ×3, first 2 shown]
	v_pk_mul_f16 v15, v37, s17 op_sel_hi:[1,0]
	v_pk_fma_f16 v39, v38, s15, v15 op_sel:[0,0,1] op_sel_hi:[1,0,0]
	v_pk_mul_f16 v47, v16, s8 op_sel_hi:[1,0]
	v_pk_add_f16 v39, v8, v39 op_sel:[1,0] op_sel_hi:[0,1]
	v_pk_fma_f16 v61, v17, s18, v47 op_sel:[0,0,1] op_sel_hi:[1,0,0]
	v_pk_add_f16 v39, v61, v39
	v_pk_mul_f16 v61, v18, s14 op_sel_hi:[1,0]
	v_pk_fma_f16 v62, v19, s5, v61 op_sel:[0,0,1] op_sel_hi:[1,0,0]
	v_pk_add_f16 v39, v62, v39
	v_pk_mul_f16 v62, v20, s7 op_sel_hi:[1,0]
	v_pk_fma_f16 v63, v21, s24, v62 op_sel:[0,0,1] op_sel_hi:[1,0,0]
	v_pk_add_f16 v39, v63, v39
	v_pk_mul_f16 v63, v27, s9 op_sel_hi:[1,0]
	v_pk_fma_f16 v64, v28, s4, v63 op_sel:[0,0,1] op_sel_hi:[1,0,0]
	v_pk_add_f16 v39, v64, v39
	v_pk_mul_f16 v64, v45, s6 op_sel_hi:[1,0]
	v_pk_fma_f16 v65, v46, s16, v64 op_sel:[0,0,1] op_sel_hi:[1,0,0]
	v_pk_fma_f16 v15, v38, s15, v15 op_sel:[0,0,1] op_sel_hi:[1,0,0] neg_lo:[1,0,0] neg_hi:[1,0,0]
	v_pk_add_f16 v39, v65, v39
	v_pk_fma_f16 v47, v17, s18, v47 op_sel:[0,0,1] op_sel_hi:[1,0,0] neg_lo:[1,0,0] neg_hi:[1,0,0]
	v_add_f16_sdwa v65, v8, v15 dst_sel:DWORD dst_unused:UNUSED_PAD src0_sel:DWORD src1_sel:WORD_1
	v_add_f16_sdwa v15, v8, v15 dst_sel:DWORD dst_unused:UNUSED_PAD src0_sel:WORD_1 src1_sel:DWORD
	v_add_f16_sdwa v65, v47, v65 dst_sel:DWORD dst_unused:UNUSED_PAD src0_sel:WORD_1 src1_sel:DWORD
	v_add_f16_e32 v15, v47, v15
	v_pk_fma_f16 v47, v19, s5, v61 op_sel:[0,0,1] op_sel_hi:[1,0,0] neg_lo:[1,0,0] neg_hi:[1,0,0]
	v_add_f16_sdwa v61, v47, v65 dst_sel:DWORD dst_unused:UNUSED_PAD src0_sel:WORD_1 src1_sel:DWORD
	v_add_f16_e32 v15, v47, v15
	v_pk_fma_f16 v47, v21, s24, v62 op_sel:[0,0,1] op_sel_hi:[1,0,0] neg_lo:[1,0,0] neg_hi:[1,0,0]
	;; [unrolled: 3-line block ×4, first 2 shown]
	s_movk_i32 s4, 0x6e
	v_add_f16_e32 v47, v62, v15
	v_add_f16_sdwa v15, v62, v61 dst_sel:DWORD dst_unused:UNUSED_PAD src0_sel:WORD_1 src1_sel:DWORD
	v_cmp_gt_u32_e32 vcc, s4, v5
	s_barrier
	s_and_saveexec_b64 s[4:5], vcc
	s_cbranch_execz .LBB0_15
; %bb.14:
	v_mul_f16_e32 v62, 0xb770, v38
	v_mul_f16_e32 v38, 0xba95, v38
	;; [unrolled: 1-line block ×4, first 2 shown]
	v_sub_f16_e32 v38, v52, v38
	v_mul_f16_e32 v66, 0xbbf1, v19
	v_mul_f16_e32 v19, 0xb3a8, v19
	v_add_f16_sdwa v38, v8, v38 dst_sel:DWORD dst_unused:UNUSED_PAD src0_sel:WORD_1 src1_sel:DWORD
	v_sub_f16_e32 v17, v53, v17
	v_mul_f16_e32 v68, 0xbb7b, v21
	v_mul_f16_e32 v21, 0x394e, v21
	v_add_f16_e32 v17, v17, v38
	v_sub_f16_e32 v19, v55, v19
	v_mul_f16_e32 v70, 0xb94e, v28
	v_mul_f16_e32 v28, 0x3bf1, v28
	v_add_f16_e32 v17, v19, v17
	;; [unrolled: 4-line block ×5, first 2 shown]
	v_add_f16_e32 v19, v37, v40
	v_mul_f16_e32 v65, 0x2fb7, v18
	v_mul_f16_e32 v18, 0xbbc4, v18
	v_add_f16_e32 v19, v8, v19
	v_add_f16_e32 v16, v16, v41
	v_mul_f16_e32 v67, 0xb5ac, v20
	v_mul_f16_e32 v20, 0xb9fd, v20
	v_add_f16_e32 v16, v16, v19
	;; [unrolled: 4-line block ×4, first 2 shown]
	v_add_f16_e32 v18, v27, v44
	v_add_f16_e32 v16, v18, v16
	;; [unrolled: 1-line block ×4, first 2 shown]
	v_sub_f16_e32 v18, v49, v62
	v_add_f16_sdwa v18, v8, v18 dst_sel:DWORD dst_unused:UNUSED_PAD src0_sel:WORD_1 src1_sel:DWORD
	v_sub_f16_e32 v19, v50, v64
	v_add_f16_e32 v18, v19, v18
	v_sub_f16_e32 v19, v51, v66
	v_add_f16_e32 v18, v19, v18
	;; [unrolled: 2-line block ×5, first 2 shown]
	v_add_f16_e32 v19, v61, v22
	v_add_f16_e32 v8, v8, v19
	;; [unrolled: 1-line block ×11, first 2 shown]
	s_mov_b32 s6, 0x5040100
	v_add_f16_e32 v8, v19, v8
	v_mad_u32_u24 v19, v5, 48, v0
	v_perm_b32 v20, v29, v7, s6
	ds_write2_b32 v19, v6, v20 offset1:1
	v_perm_b32 v20, v32, v9, s6
	ds_write2_b32 v19, v20, v10 offset0:2 offset1:3
	v_perm_b32 v20, v35, v12, s6
	v_perm_b32 v21, v34, v11, s6
	ds_write2_b32 v19, v21, v20 offset0:4 offset1:5
	v_perm_b32 v20, v39, v15, s6
	v_alignbit_b32 v21, v47, v39, 16
	ds_write2_b32 v19, v20, v21 offset0:6 offset1:7
	v_perm_b32 v20, v33, v14, s6
	v_perm_b32 v21, v30, v13, s6
	v_pack_b32_f16 v16, v16, v17
	v_pack_b32_f16 v8, v8, v18
	ds_write2_b32 v19, v21, v20 offset0:8 offset1:9
	ds_write2_b32 v19, v31, v16 offset0:10 offset1:11
	ds_write_b32 v19, v8 offset:48
.LBB0_15:
	s_or_b64 exec, exec, s[4:5]
	s_movk_i32 s4, 0x82
	v_cmp_gt_u32_e32 vcc, s4, v5
	v_lshrrev_b32_e32 v8, 16, v10
	v_lshrrev_b32_e32 v16, 16, v39
	s_waitcnt lgkmcnt(0)
	s_barrier
	s_and_saveexec_b64 s[4:5], vcc
	s_cbranch_execz .LBB0_17
; %bb.16:
	v_add_u32_e32 v8, 0x400, v0
	ds_read2_b32 v[9:10], v8 offset0:4 offset1:134
	v_add_u32_e32 v8, 0x1000, v0
	ds_read2_b32 v[13:14], v8 offset0:16 offset1:146
	;; [unrolled: 2-line block ×3, first 2 shown]
	v_add_u32_e32 v8, 0xc00, v0
	ds_read2_b32 v[6:7], v0 offset1:130
	ds_read2_b32 v[15:16], v8 offset0:12 offset1:142
	ds_read_b32 v31, v0 offset:5200
	s_waitcnt lgkmcnt(4)
	v_lshrrev_b32_e32 v30, 16, v13
	v_lshrrev_b32_e32 v33, 16, v14
	s_waitcnt lgkmcnt(2)
	v_lshrrev_b32_e32 v29, 16, v7
	v_lshrrev_b32_e32 v32, 16, v9
	;; [unrolled: 1-line block ×5, first 2 shown]
	s_waitcnt lgkmcnt(1)
	v_lshrrev_b32_e32 v39, 16, v15
	v_lshrrev_b32_e32 v47, 16, v16
.LBB0_17:
	s_or_b64 exec, exec, s[4:5]
	s_waitcnt lgkmcnt(0)
	s_barrier
	s_and_saveexec_b64 s[4:5], vcc
	s_cbranch_execz .LBB0_19
; %bb.18:
	s_movk_i32 s6, 0x4f
	v_mul_lo_u16_sdwa v17, v5, s6 dst_sel:DWORD dst_unused:UNUSED_PAD src0_sel:BYTE_0 src1_sel:DWORD
	v_lshrrev_b16_e32 v27, 10, v17
	v_mul_lo_u16_e32 v17, 13, v27
	v_sub_u16_e32 v28, v5, v17
	v_mov_b32_e32 v17, 10
	v_mul_u32_u24_sdwa v17, v28, v17 dst_sel:DWORD dst_unused:UNUSED_PAD src0_sel:BYTE_0 src1_sel:DWORD
	v_lshlrev_b32_e32 v36, 2, v17
	global_load_dwordx2 v[25:26], v36, s[12:13] offset:32
	global_load_dwordx4 v[17:20], v36, s[12:13]
	global_load_dwordx4 v[21:24], v36, s[12:13] offset:16
	v_lshrrev_b32_e32 v36, 16, v31
	s_movk_i32 s15, 0x3482
	s_mov_b32 s16, 0xb853
	s_mov_b32 s20, 0xb482
	s_movk_i32 s17, 0x3a0c
	s_movk_i32 s21, 0x3853
	s_mov_b32 s18, 0xbb47
	s_mov_b32 s6, 0xbbad
	s_movk_i32 s19, 0x3beb
	s_movk_i32 s7, 0x3abb
	s_mov_b32 s8, 0xb93d
	s_movk_i32 s9, 0x36a6
	s_mov_b32 s14, 0xb08e
	s_waitcnt vmcnt(2)
	v_mul_f16_sdwa v37, v31, v26 dst_sel:DWORD dst_unused:UNUSED_PAD src0_sel:DWORD src1_sel:WORD_1
	s_waitcnt vmcnt(1)
	v_mul_f16_sdwa v38, v7, v17 dst_sel:DWORD dst_unused:UNUSED_PAD src0_sel:DWORD src1_sel:WORD_1
	v_mul_f16_sdwa v40, v29, v17 dst_sel:DWORD dst_unused:UNUSED_PAD src0_sel:DWORD src1_sel:WORD_1
	;; [unrolled: 1-line block ×7, first 2 shown]
	s_waitcnt vmcnt(0)
	v_mul_f16_sdwa v51, v16, v23 dst_sel:DWORD dst_unused:UNUSED_PAD src0_sel:DWORD src1_sel:WORD_1
	v_mul_f16_sdwa v54, v47, v23 dst_sel:DWORD dst_unused:UNUSED_PAD src0_sel:DWORD src1_sel:WORD_1
	;; [unrolled: 1-line block ×4, first 2 shown]
	v_fma_f16 v36, v36, v26, v37
	v_fma_f16 v29, v29, v17, v38
	v_mul_f16_sdwa v44, v32, v18 dst_sel:DWORD dst_unused:UNUSED_PAD src0_sel:DWORD src1_sel:WORD_1
	v_mul_f16_sdwa v45, v33, v25 dst_sel:DWORD dst_unused:UNUSED_PAD src0_sel:DWORD src1_sel:WORD_1
	v_mul_f16_sdwa v46, v13, v24 dst_sel:DWORD dst_unused:UNUSED_PAD src0_sel:DWORD src1_sel:WORD_1
	v_mul_f16_sdwa v50, v30, v24 dst_sel:DWORD dst_unused:UNUSED_PAD src0_sel:DWORD src1_sel:WORD_1
	v_mul_f16_sdwa v52, v11, v20 dst_sel:DWORD dst_unused:UNUSED_PAD src0_sel:DWORD src1_sel:WORD_1
	v_mul_f16_sdwa v53, v34, v20 dst_sel:DWORD dst_unused:UNUSED_PAD src0_sel:DWORD src1_sel:WORD_1
	v_mul_f16_sdwa v55, v15, v22 dst_sel:DWORD dst_unused:UNUSED_PAD src0_sel:DWORD src1_sel:WORD_1
	v_mul_f16_sdwa v58, v39, v22 dst_sel:DWORD dst_unused:UNUSED_PAD src0_sel:DWORD src1_sel:WORD_1
	v_fma_f16 v7, v7, v17, -v40
	v_fma_f16 v17, v31, v26, -v41
	v_fma_f16 v26, v33, v25, v42
	v_fma_f16 v31, v32, v18, v43
	;; [unrolled: 1-line block ×3, first 2 shown]
	v_fma_f16 v10, v10, v19, -v49
	v_fma_f16 v19, v47, v23, v51
	v_fma_f16 v16, v16, v23, -v54
	v_fma_f16 v23, v35, v21, v56
	v_fma_f16 v12, v12, v21, -v57
	v_add_f16_e32 v21, v29, v36
	v_fma_f16 v9, v9, v18, -v44
	v_fma_f16 v14, v14, v25, -v45
	v_fma_f16 v18, v30, v24, v46
	v_fma_f16 v13, v13, v24, -v50
	v_fma_f16 v24, v34, v20, v52
	;; [unrolled: 2-line block ×3, first 2 shown]
	v_fma_f16 v15, v15, v22, -v58
	v_sub_f16_e32 v22, v7, v17
	v_add_f16_e32 v25, v31, v26
	v_mul_f16_e32 v43, 0xbbad, v21
	v_sub_f16_e32 v30, v9, v14
	v_add_f16_e32 v32, v8, v18
	v_mul_f16_e32 v44, 0x3abb, v25
	v_fma_f16 v50, v22, s15, v43
	v_sub_f16_e32 v33, v10, v13
	v_add_f16_e32 v34, v24, v19
	v_mul_f16_e32 v45, 0xb93d, v32
	v_fma_f16 v51, v30, s16, v44
	v_add_f16_sdwa v50, v6, v50 dst_sel:DWORD dst_unused:UNUSED_PAD src0_sel:WORD_1 src1_sel:DWORD
	v_fma_f16 v43, v22, s20, v43
	v_sub_f16_e32 v35, v11, v16
	v_add_f16_e32 v37, v23, v20
	v_sub_f16_e32 v40, v29, v36
	v_mul_f16_e32 v46, 0x36a6, v34
	v_fma_f16 v52, v33, s17, v45
	v_add_f16_e32 v50, v51, v50
	s_mov_b32 s15, 0xba0c
	v_add_f16_sdwa v43, v6, v43 dst_sel:DWORD dst_unused:UNUSED_PAD src0_sel:WORD_1 src1_sel:DWORD
	v_fma_f16 v44, v30, s21, v44
	v_sub_f16_e32 v38, v12, v15
	v_add_f16_e32 v39, v7, v17
	v_sub_f16_e32 v42, v31, v26
	v_mul_f16_e32 v47, 0xb08e, v37
	v_mul_f16_e32 v48, 0xb482, v40
	v_fma_f16 v53, v35, s18, v46
	v_add_f16_e32 v50, v52, v50
	s_movk_i32 s16, 0x3b47
	v_add_f16_e32 v43, v44, v43
	v_fma_f16 v44, v33, s15, v45
	v_add_f16_e32 v41, v9, v14
	v_mul_f16_e32 v49, 0x3853, v42
	v_fma_f16 v54, v38, s19, v47
	v_fma_f16 v55, v39, s6, v48
	v_add_f16_e32 v50, v53, v50
	v_sub_f16_e32 v53, v8, v18
	s_mov_b32 s17, 0xbbeb
	v_add_f16_e32 v43, v44, v43
	v_fma_f16 v44, v35, s16, v46
	v_add_f16_e32 v55, v6, v55
	v_add_f16_e32 v50, v54, v50
	v_fma_f16 v51, v41, s7, v49
	v_add_f16_e32 v52, v10, v13
	v_mul_f16_e32 v54, 0xba0c, v53
	v_add_f16_e32 v43, v44, v43
	v_fma_f16 v44, v38, s17, v47
	v_add_f16_e32 v51, v51, v55
	v_fma_f16 v55, v52, s8, v54
	v_sub_f16_e32 v56, v24, v19
	v_add_f16_e32 v43, v44, v43
	v_fma_f16 v44, v39, s6, -v48
	v_add_f16_e32 v51, v55, v51
	v_add_f16_e32 v55, v11, v16
	v_mul_f16_e32 v57, 0x3b47, v56
	v_add_f16_e32 v44, v6, v44
	v_fma_f16 v45, v41, s7, -v49
	v_fma_f16 v58, v55, s9, v57
	v_sub_f16_e32 v59, v23, v20
	v_add_f16_e32 v44, v45, v44
	v_fma_f16 v45, v52, s8, -v54
	v_add_f16_e32 v51, v58, v51
	v_add_f16_e32 v58, v12, v15
	v_mul_f16_e32 v60, 0xbbeb, v59
	v_add_f16_e32 v44, v45, v44
	v_fma_f16 v45, v55, s9, -v57
	v_add_f16_e32 v44, v45, v44
	v_fma_f16 v45, v58, s14, -v60
	v_add_f16_e32 v44, v45, v44
	v_mul_f16_e32 v45, 0xba0c, v22
	v_fma_f16 v46, v21, s8, v45
	v_mul_f16_e32 v47, 0x3beb, v30
	v_add_f16_sdwa v46, v6, v46 dst_sel:DWORD dst_unused:UNUSED_PAD src0_sel:WORD_1 src1_sel:DWORD
	v_fma_f16 v48, v25, s14, v47
	v_add_f16_e32 v46, v48, v46
	v_mul_f16_e32 v48, 0xb853, v33
	v_fma_f16 v49, v32, s7, v48
	v_add_f16_e32 v46, v49, v46
	v_mul_f16_e32 v49, 0xb482, v35
	;; [unrolled: 3-line block ×3, first 2 shown]
	v_fma_f16 v57, v37, s9, v54
	v_fma_f16 v61, v58, s14, v60
	v_add_f16_e32 v46, v57, v46
	v_mul_f16_e32 v57, 0xba0c, v40
	v_add_f16_e32 v51, v61, v51
	v_fma_f16 v60, v39, s8, -v57
	v_mul_f16_e32 v61, 0x3beb, v42
	v_add_f16_e32 v60, v6, v60
	v_fma_f16 v62, v41, s14, -v61
	v_add_f16_e32 v60, v62, v60
	v_mul_f16_e32 v62, 0xb853, v53
	v_fma_f16 v63, v52, s7, -v62
	v_add_f16_e32 v60, v63, v60
	v_mul_f16_e32 v63, 0xb482, v56
	;; [unrolled: 3-line block ×4, first 2 shown]
	v_fma_f16 v66, v21, s14, v65
	v_mul_f16_e32 v67, 0x3482, v30
	v_add_f16_sdwa v66, v6, v66 dst_sel:DWORD dst_unused:UNUSED_PAD src0_sel:WORD_1 src1_sel:DWORD
	v_fma_f16 v68, v25, s6, v67
	v_add_f16_e32 v66, v68, v66
	v_mul_f16_e32 v68, 0x3b47, v33
	v_add_f16_e32 v7, v6, v7
	v_fma_f16 v69, v32, s9, v68
	v_add_f16_e32 v7, v7, v9
	v_add_f16_sdwa v9, v6, v29 dst_sel:DWORD dst_unused:UNUSED_PAD src0_sel:WORD_1 src1_sel:DWORD
	v_add_f16_e32 v66, v69, v66
	v_mul_f16_e32 v69, 0xb853, v35
	v_add_f16_e32 v9, v9, v31
	v_fma_f16 v70, v34, s7, v69
	v_add_f16_e32 v8, v9, v8
	v_fma_f16 v9, v21, s8, -v45
	v_add_f16_e32 v66, v70, v66
	v_mul_f16_e32 v70, 0xba0c, v38
	v_add_f16_e32 v7, v7, v10
	v_add_f16_sdwa v9, v6, v9 dst_sel:DWORD dst_unused:UNUSED_PAD src0_sel:WORD_1 src1_sel:DWORD
	v_fma_f16 v10, v25, s14, -v47
	v_fma_f16 v71, v37, s8, v70
	v_add_f16_e32 v9, v10, v9
	v_fma_f16 v10, v32, s7, -v48
	v_add_f16_e32 v66, v71, v66
	v_mul_f16_e32 v71, 0xbbeb, v40
	v_add_f16_e32 v9, v10, v9
	v_fma_f16 v10, v34, s6, -v49
	v_fma_f16 v72, v39, s14, -v71
	v_mul_f16_e32 v73, 0x3482, v42
	v_add_f16_e32 v9, v10, v9
	v_fma_f16 v10, v37, s9, -v54
	v_add_f16_e32 v72, v6, v72
	v_fma_f16 v74, v41, s6, -v73
	v_add_f16_e32 v9, v10, v9
	v_fma_f16 v10, v39, s8, v57
	v_add_f16_e32 v72, v74, v72
	v_mul_f16_e32 v74, 0x3b47, v53
	v_add_f16_e32 v7, v7, v11
	v_add_f16_e32 v10, v6, v10
	v_fma_f16 v11, v41, s14, v61
	v_fma_f16 v75, v52, s9, -v74
	v_add_f16_e32 v10, v11, v10
	v_fma_f16 v11, v52, s7, v62
	v_add_f16_e32 v72, v75, v72
	v_mul_f16_e32 v75, 0xb853, v56
	v_add_f16_e32 v10, v11, v10
	v_fma_f16 v11, v55, s6, v63
	v_fma_f16 v76, v55, s7, -v75
	v_add_f16_e32 v10, v11, v10
	v_fma_f16 v11, v58, s9, v64
	v_add_f16_e32 v72, v76, v72
	v_mul_f16_e32 v76, 0xba0c, v59
	v_add_f16_e32 v10, v11, v10
	v_fma_f16 v11, v21, s14, -v65
	v_fma_f16 v77, v58, s8, -v76
	v_add_f16_e32 v7, v7, v12
	v_add_f16_sdwa v11, v6, v11 dst_sel:DWORD dst_unused:UNUSED_PAD src0_sel:WORD_1 src1_sel:DWORD
	v_fma_f16 v12, v25, s6, -v67
	v_add_f16_e32 v72, v77, v72
	v_mul_f16_e32 v77, 0xbb47, v22
	v_add_f16_e32 v11, v12, v11
	v_fma_f16 v12, v32, s9, -v68
	v_fma_f16 v78, v21, s9, v77
	v_mul_f16_e32 v79, 0xba0c, v30
	v_add_f16_e32 v11, v12, v11
	v_fma_f16 v12, v34, s7, -v69
	v_add_f16_sdwa v78, v6, v78 dst_sel:DWORD dst_unused:UNUSED_PAD src0_sel:WORD_1 src1_sel:DWORD
	v_fma_f16 v80, v25, s8, v79
	v_add_f16_e32 v7, v7, v15
	v_add_f16_e32 v11, v12, v11
	v_fma_f16 v12, v37, s8, -v70
	v_add_f16_e32 v78, v80, v78
	v_mul_f16_e32 v80, 0x3482, v33
	v_add_f16_e32 v7, v7, v16
	v_add_f16_e32 v11, v12, v11
	v_fma_f16 v12, v39, s14, v71
	v_fma_f16 v81, v32, s6, v80
	v_add_f16_e32 v7, v7, v13
	v_add_f16_e32 v12, v6, v12
	v_fma_f16 v13, v41, s6, v73
	v_add_f16_e32 v78, v81, v78
	v_mul_f16_e32 v81, 0x3beb, v35
	v_add_f16_e32 v12, v13, v12
	v_fma_f16 v13, v52, s9, v74
	v_fma_f16 v82, v34, s14, v81
	v_add_f16_e32 v12, v13, v12
	v_fma_f16 v13, v55, s7, v75
	v_add_f16_e32 v78, v82, v78
	v_mul_f16_e32 v82, 0x3853, v38
	v_add_f16_e32 v12, v13, v12
	v_fma_f16 v13, v58, s8, v76
	v_fma_f16 v83, v37, s7, v82
	v_add_f16_e32 v12, v13, v12
	v_fma_f16 v13, v21, s9, -v77
	v_add_f16_e32 v78, v83, v78
	v_mul_f16_e32 v83, 0xbb47, v40
	v_add_f16_e32 v7, v7, v14
	v_add_f16_sdwa v13, v6, v13 dst_sel:DWORD dst_unused:UNUSED_PAD src0_sel:WORD_1 src1_sel:DWORD
	v_fma_f16 v14, v25, s8, -v79
	v_fma_f16 v84, v39, s9, -v83
	v_mul_f16_e32 v85, 0xba0c, v42
	v_add_f16_e32 v13, v14, v13
	v_fma_f16 v14, v32, s6, -v80
	v_add_f16_e32 v84, v6, v84
	v_fma_f16 v86, v41, s8, -v85
	;; [unrolled: 2-line block ×3, first 2 shown]
	v_add_f16_e32 v84, v86, v84
	v_mul_f16_e32 v86, 0x3482, v53
	v_add_f16_e32 v13, v14, v13
	v_fma_f16 v14, v37, s7, -v82
	v_fma_f16 v87, v52, s6, -v86
	v_add_f16_e32 v13, v14, v13
	v_fma_f16 v14, v39, s9, v83
	v_add_f16_e32 v84, v87, v84
	v_mul_f16_e32 v87, 0x3beb, v56
	v_add_f16_e32 v14, v6, v14
	v_fma_f16 v15, v41, s8, v85
	v_fma_f16 v88, v55, s14, -v87
	v_add_f16_e32 v14, v15, v14
	v_fma_f16 v15, v52, s6, v86
	v_add_f16_e32 v84, v88, v84
	v_mul_f16_e32 v88, 0x3853, v59
	v_add_f16_e32 v14, v15, v14
	v_fma_f16 v15, v55, s14, v87
	v_fma_f16 v89, v58, s7, -v88
	v_mul_f16_e32 v22, 0xb853, v22
	v_add_f16_e32 v14, v15, v14
	v_fma_f16 v15, v58, s7, v88
	v_add_f16_e32 v84, v89, v84
	v_fma_f16 v89, v21, s7, v22
	v_mul_f16_e32 v30, 0xbb47, v30
	v_add_f16_e32 v14, v15, v14
	v_fma_f16 v15, v21, s7, -v22
	v_add_f16_sdwa v89, v6, v89 dst_sel:DWORD dst_unused:UNUSED_PAD src0_sel:WORD_1 src1_sel:DWORD
	v_fma_f16 v90, v25, s9, v30
	v_mul_f16_e32 v33, 0xbbeb, v33
	v_add_f16_sdwa v15, v6, v15 dst_sel:DWORD dst_unused:UNUSED_PAD src0_sel:WORD_1 src1_sel:DWORD
	v_fma_f16 v16, v25, s9, -v30
	v_add_f16_e32 v89, v90, v89
	v_fma_f16 v90, v32, s14, v33
	v_mul_f16_e32 v35, 0xba0c, v35
	v_add_f16_e32 v15, v16, v15
	v_fma_f16 v16, v32, s14, -v33
	v_add_f16_e32 v89, v90, v89
	v_fma_f16 v90, v34, s8, v35
	v_mul_f16_e32 v38, 0xb482, v38
	v_add_f16_e32 v15, v16, v15
	;; [unrolled: 5-line block ×3, first 2 shown]
	v_add_f16_e32 v15, v16, v15
	v_fma_f16 v16, v37, s6, -v38
	v_add_f16_e32 v89, v90, v89
	v_fma_f16 v90, v39, s7, -v40
	v_mul_f16_e32 v42, 0xbb47, v42
	v_add_f16_e32 v8, v8, v23
	v_add_f16_e32 v15, v16, v15
	v_fma_f16 v16, v39, s7, v40
	v_add_f16_e32 v90, v6, v90
	v_fma_f16 v91, v41, s9, -v42
	v_mul_f16_e32 v53, 0xbbeb, v53
	v_add_f16_e32 v8, v8, v20
	v_add_f16_e32 v6, v6, v16
	v_fma_f16 v16, v41, s9, v42
	;; [unrolled: 6-line block ×4, first 2 shown]
	v_add_f16_e32 v90, v91, v90
	v_fma_f16 v91, v58, s6, -v59
	v_add_f16_e32 v7, v7, v17
	v_add_f16_e32 v8, v8, v26
	;; [unrolled: 1-line block ×3, first 2 shown]
	v_fma_f16 v16, v58, s6, v59
	v_mov_b32_e32 v17, 2
	v_add_f16_e32 v90, v91, v90
	v_add_f16_e32 v8, v8, v36
	;; [unrolled: 1-line block ×3, first 2 shown]
	v_mul_u32_u24_e32 v16, 0x23c, v27
	v_lshlrev_b32_sdwa v17, v17, v28 dst_sel:DWORD dst_unused:UNUSED_PAD src0_sel:DWORD src1_sel:BYTE_0
	v_add3_u32 v16, 0, v16, v17
	v_pack_b32_f16 v7, v7, v8
	v_pack_b32_f16 v8, v90, v89
	ds_write2_b32 v16, v7, v8 offset1:13
	v_pack_b32_f16 v7, v84, v78
	v_pack_b32_f16 v8, v72, v66
	ds_write2_b32 v16, v7, v8 offset0:26 offset1:39
	v_pack_b32_f16 v7, v60, v46
	v_pack_b32_f16 v8, v44, v43
	ds_write2_b32 v16, v7, v8 offset0:52 offset1:65
	;; [unrolled: 3-line block ×3, first 2 shown]
	v_pack_b32_f16 v7, v12, v11
	v_pack_b32_f16 v8, v14, v13
	v_pack_b32_f16 v6, v6, v15
	ds_write2_b32 v16, v7, v8 offset0:104 offset1:117
	ds_write_b32 v16, v6 offset:520
.LBB0_19:
	s_or_b64 exec, exec, s[4:5]
	v_mul_u32_u24_e32 v6, 9, v5
	v_lshlrev_b32_e32 v14, 2, v6
	s_load_dwordx2 s[2:3], s[2:3], 0x0
	s_waitcnt lgkmcnt(0)
	s_barrier
	global_load_dwordx4 v[6:9], v14, s[12:13] offset:520
	global_load_dwordx4 v[10:13], v14, s[12:13] offset:536
	global_load_dword v24, v14, s[12:13] offset:552
	v_add_u32_e32 v25, 0x400, v0
	ds_read2_b32 v[14:15], v0 offset1:143
	v_add_u32_e32 v26, 0x800, v0
	v_add_u32_e32 v27, 0xc00, v0
	v_add_u32_e32 v28, 0x1100, v0
	ds_read2_b32 v[16:17], v25 offset0:30 offset1:173
	ds_read2_b32 v[18:19], v27 offset0:90 offset1:233
	;; [unrolled: 1-line block ×4, first 2 shown]
	s_waitcnt lgkmcnt(4)
	v_lshrrev_b32_e32 v30, 16, v15
	s_waitcnt lgkmcnt(3)
	v_lshrrev_b32_e32 v35, 16, v16
	;; [unrolled: 2-line block ×5, first 2 shown]
	v_lshrrev_b32_e32 v32, 16, v19
	v_lshrrev_b32_e32 v34, 16, v23
	;; [unrolled: 1-line block ×3, first 2 shown]
	s_movk_i32 s4, 0x3b9c
	s_mov_b32 s7, 0xbb9c
	s_movk_i32 s5, 0x38b4
	s_mov_b32 s8, 0xb8b4
	v_lshrrev_b32_e32 v29, 16, v14
	s_movk_i32 s6, 0x34f2
	v_lshrrev_b32_e32 v38, 16, v21
	s_movk_i32 s9, 0x3a79
	s_waitcnt vmcnt(0)
	s_barrier
	v_cmp_ne_u32_e32 vcc, 0, v5
	v_mul_f16_sdwa v45, v9, v37 dst_sel:DWORD dst_unused:UNUSED_PAD src0_sel:WORD_1 src1_sel:DWORD
	v_mul_f16_sdwa v49, v31, v11 dst_sel:DWORD dst_unused:UNUSED_PAD src0_sel:DWORD src1_sel:WORD_1
	v_mul_f16_sdwa v41, v7, v35 dst_sel:DWORD dst_unused:UNUSED_PAD src0_sel:WORD_1 src1_sel:DWORD
	v_mul_f16_sdwa v42, v7, v16 dst_sel:DWORD dst_unused:UNUSED_PAD src0_sel:WORD_1 src1_sel:DWORD
	;; [unrolled: 1-line block ×3, first 2 shown]
	v_mul_f16_sdwa v50, v18, v11 dst_sel:DWORD dst_unused:UNUSED_PAD src0_sel:DWORD src1_sel:WORD_1
	v_mul_f16_sdwa v53, v33, v13 dst_sel:DWORD dst_unused:UNUSED_PAD src0_sel:DWORD src1_sel:WORD_1
	;; [unrolled: 1-line block ×3, first 2 shown]
	v_fma_f16 v20, v9, v20, -v45
	v_fma_f16 v18, v18, v11, -v49
	v_mul_f16_sdwa v43, v8, v36 dst_sel:DWORD dst_unused:UNUSED_PAD src0_sel:WORD_1 src1_sel:DWORD
	v_mul_f16_sdwa v44, v8, v17 dst_sel:DWORD dst_unused:UNUSED_PAD src0_sel:WORD_1 src1_sel:DWORD
	v_mul_f16_sdwa v51, v32, v12 dst_sel:DWORD dst_unused:UNUSED_PAD src0_sel:DWORD src1_sel:WORD_1
	v_mul_f16_sdwa v52, v19, v12 dst_sel:DWORD dst_unused:UNUSED_PAD src0_sel:DWORD src1_sel:WORD_1
	;; [unrolled: 1-line block ×4, first 2 shown]
	v_fma_f16 v16, v7, v16, -v41
	v_fma_f16 v7, v7, v35, v42
	v_fma_f16 v11, v31, v11, v50
	v_fma_f16 v22, v22, v13, -v53
	v_fma_f16 v13, v33, v13, v54
	v_add_f16_e32 v31, v20, v18
	v_mul_f16_sdwa v39, v6, v30 dst_sel:DWORD dst_unused:UNUSED_PAD src0_sel:WORD_1 src1_sel:DWORD
	v_mul_f16_sdwa v40, v6, v15 dst_sel:DWORD dst_unused:UNUSED_PAD src0_sel:WORD_1 src1_sel:DWORD
	v_fma_f16 v17, v8, v17, -v43
	v_fma_f16 v8, v8, v36, v44
	v_fma_f16 v9, v9, v37, v46
	v_fma_f16 v19, v19, v12, -v51
	v_fma_f16 v12, v32, v12, v52
	v_fma_f16 v23, v23, v24, -v55
	v_fma_f16 v24, v34, v24, v56
	v_sub_f16_e32 v32, v7, v13
	v_sub_f16_e32 v34, v16, v20
	;; [unrolled: 1-line block ×3, first 2 shown]
	v_add_f16_e32 v36, v16, v22
	v_fma_f16 v31, v31, -0.5, v14
	v_fma_f16 v15, v6, v15, -v39
	v_fma_f16 v6, v6, v30, v40
	v_add_f16_e32 v30, v14, v16
	v_sub_f16_e32 v33, v9, v11
	v_add_f16_e32 v34, v34, v35
	v_fma_f16 v14, v36, -0.5, v14
	v_fma_f16 v35, v32, s4, v31
	v_fma_f16 v31, v32, s7, v31
	v_add_f16_e32 v30, v30, v20
	v_fma_f16 v36, v33, s7, v14
	v_fma_f16 v35, v33, s5, v35
	;; [unrolled: 1-line block ×4, first 2 shown]
	v_add_f16_e32 v33, v9, v11
	v_add_f16_e32 v30, v30, v18
	v_fma_f16 v35, v34, s6, v35
	v_fma_f16 v31, v34, s6, v31
	;; [unrolled: 1-line block ×3, first 2 shown]
	v_sub_f16_e32 v36, v20, v16
	v_sub_f16_e32 v37, v18, v22
	v_fma_f16 v33, v33, -0.5, v29
	v_sub_f16_e32 v16, v16, v22
	v_add_f16_e32 v30, v30, v22
	v_add_f16_e32 v36, v36, v37
	v_fma_f16 v14, v32, s8, v14
	v_fma_f16 v22, v16, s7, v33
	v_sub_f16_e32 v18, v20, v18
	v_fma_f16 v34, v36, s6, v34
	v_fma_f16 v14, v36, s6, v14
	;; [unrolled: 1-line block ×3, first 2 shown]
	v_sub_f16_e32 v22, v7, v9
	v_sub_f16_e32 v36, v13, v11
	v_fma_f16 v33, v16, s4, v33
	v_add_f16_e32 v32, v29, v7
	v_add_f16_e32 v22, v22, v36
	v_fma_f16 v33, v18, s5, v33
	v_mul_f16_sdwa v47, v10, v38 dst_sel:DWORD dst_unused:UNUSED_PAD src0_sel:WORD_1 src1_sel:DWORD
	v_add_f16_e32 v32, v32, v9
	v_fma_f16 v20, v22, s6, v20
	v_fma_f16 v22, v22, s6, v33
	v_add_f16_e32 v33, v7, v13
	v_mul_f16_sdwa v48, v10, v21 dst_sel:DWORD dst_unused:UNUSED_PAD src0_sel:WORD_1 src1_sel:DWORD
	v_fma_f16 v21, v10, v21, -v47
	v_add_f16_e32 v32, v32, v11
	v_fma_f16 v29, v33, -0.5, v29
	v_add_f16_e32 v32, v32, v13
	v_fma_f16 v33, v18, s4, v29
	v_sub_f16_e32 v7, v9, v7
	v_sub_f16_e32 v9, v11, v13
	v_fma_f16 v11, v18, s7, v29
	v_add_f16_e32 v13, v21, v19
	v_fma_f16 v10, v10, v38, v48
	v_fma_f16 v33, v16, s8, v33
	v_add_f16_e32 v7, v7, v9
	v_fma_f16 v11, v16, s5, v11
	v_fma_f16 v13, v13, -0.5, v15
	v_sub_f16_e32 v16, v8, v24
	v_fma_f16 v9, v7, s6, v33
	v_fma_f16 v18, v16, s4, v13
	v_sub_f16_e32 v29, v10, v12
	v_sub_f16_e32 v33, v17, v21
	;; [unrolled: 1-line block ×3, first 2 shown]
	v_fma_f16 v13, v16, s7, v13
	v_fma_f16 v18, v29, s5, v18
	v_add_f16_e32 v33, v33, v36
	v_fma_f16 v13, v29, s8, v13
	v_fma_f16 v18, v33, s6, v18
	;; [unrolled: 1-line block ×3, first 2 shown]
	v_add_f16_e32 v33, v17, v23
	v_fma_f16 v7, v7, s6, v11
	v_add_f16_e32 v11, v15, v17
	v_fma_f16 v15, v33, -0.5, v15
	v_add_f16_e32 v11, v11, v21
	v_fma_f16 v33, v29, s7, v15
	v_fma_f16 v15, v29, s4, v15
	v_add_f16_e32 v29, v10, v12
	v_add_f16_e32 v11, v11, v19
	v_sub_f16_e32 v36, v21, v17
	v_sub_f16_e32 v37, v19, v23
	v_fma_f16 v29, v29, -0.5, v6
	v_sub_f16_e32 v17, v17, v23
	v_add_f16_e32 v11, v11, v23
	v_fma_f16 v33, v16, s5, v33
	v_add_f16_e32 v36, v36, v37
	v_fma_f16 v15, v16, s8, v15
	v_fma_f16 v23, v17, s7, v29
	v_sub_f16_e32 v19, v21, v19
	v_fma_f16 v33, v36, s6, v33
	v_fma_f16 v15, v36, s6, v15
	v_fma_f16 v21, v19, s8, v23
	v_sub_f16_e32 v23, v8, v10
	v_sub_f16_e32 v36, v24, v12
	v_fma_f16 v29, v17, s4, v29
	v_add_f16_e32 v23, v23, v36
	v_fma_f16 v29, v19, s5, v29
	v_fma_f16 v21, v23, s6, v21
	v_fma_f16 v23, v23, s6, v29
	v_add_f16_e32 v29, v8, v24
	v_add_f16_e32 v16, v6, v8
	v_fma_f16 v6, v29, -0.5, v6
	v_add_f16_e32 v16, v16, v10
	v_fma_f16 v29, v19, s4, v6
	v_sub_f16_e32 v8, v10, v8
	v_sub_f16_e32 v10, v12, v24
	v_fma_f16 v29, v17, s8, v29
	v_add_f16_e32 v8, v8, v10
	v_fma_f16 v6, v19, s7, v6
	v_add_f16_e32 v16, v16, v12
	v_fma_f16 v10, v8, s6, v29
	v_fma_f16 v6, v17, s5, v6
	v_mul_f16_e32 v12, 0x38b4, v21
	v_fma_f16 v6, v8, s6, v6
	v_fma_f16 v12, v18, s9, v12
	v_mul_f16_e32 v19, 0x3b9c, v10
	v_mul_f16_e32 v29, 0x34f2, v15
	;; [unrolled: 1-line block ×3, first 2 shown]
	v_add_f16_e32 v16, v16, v24
	v_fma_f16 v19, v33, s6, v19
	v_fma_f16 v29, v6, s4, -v29
	v_mul_f16_e32 v37, 0x3a79, v13
	v_fma_f16 v18, v21, s9, v18
	v_mul_f16_e32 v33, 0xbb9c, v33
	v_mul_f16_e32 v6, 0x34f2, v6
	v_add_f16_e32 v8, v30, v11
	v_add_f16_e32 v17, v35, v12
	v_fma_f16 v37, v23, s5, -v37
	v_add_f16_e32 v39, v32, v16
	v_add_f16_e32 v21, v20, v18
	v_fma_f16 v10, v10, s6, v33
	v_fma_f16 v6, v15, s7, -v6
	v_mul_f16_e32 v23, 0x3a79, v23
	v_add_f16_e32 v24, v34, v19
	v_add_f16_e32 v36, v14, v29
	;; [unrolled: 1-line block ×4, first 2 shown]
	v_fma_f16 v13, v13, s8, -v23
	v_sub_f16_e32 v9, v9, v10
	v_pack_b32_f16 v8, v8, v39
	v_pack_b32_f16 v10, v17, v21
	v_add_f16_e32 v38, v31, v37
	v_add_f16_e32 v23, v22, v13
	v_sub_f16_e32 v11, v30, v11
	v_sub_f16_e32 v16, v32, v16
	ds_write2_b32 v0, v8, v10 offset1:143
	v_pack_b32_f16 v8, v24, v33
	v_pack_b32_f16 v10, v36, v15
	v_sub_f16_e32 v12, v35, v12
	v_sub_f16_e32 v19, v34, v19
	;; [unrolled: 1-line block ×7, first 2 shown]
	ds_write2_b32 v25, v8, v10 offset0:30 offset1:173
	v_pack_b32_f16 v8, v38, v23
	v_pack_b32_f16 v10, v11, v16
	ds_write2_b32 v26, v8, v10 offset0:60 offset1:203
	v_pack_b32_f16 v8, v12, v18
	v_pack_b32_f16 v9, v19, v9
	;; [unrolled: 1-line block ×4, first 2 shown]
	ds_write2_b32 v27, v8, v9 offset0:90 offset1:233
	ds_write2_b32 v28, v6, v7 offset0:56 offset1:199
	s_waitcnt lgkmcnt(0)
	s_barrier
	ds_read_b32 v12, v0
	s_add_u32 s6, s12, 0x1624
	v_lshlrev_b32_e32 v6, 2, v5
	s_addc_u32 s7, s13, 0
	v_sub_u32_e32 v8, 0, v6
                                        ; implicit-def: $vgpr11
                                        ; implicit-def: $vgpr9
                                        ; implicit-def: $vgpr10
                                        ; implicit-def: $vgpr6_vgpr7
	s_and_saveexec_b64 s[4:5], vcc
	s_xor_b64 s[4:5], exec, s[4:5]
	s_cbranch_execz .LBB0_21
; %bb.20:
	v_mov_b32_e32 v6, 0
	v_lshlrev_b64 v[9:10], 2, v[5:6]
	v_mov_b32_e32 v7, s7
	v_add_co_u32_e32 v9, vcc, s6, v9
	v_addc_co_u32_e32 v10, vcc, v7, v10, vcc
	global_load_dword v7, v[9:10], off
	ds_read_b32 v9, v8 offset:5720
	s_mov_b32 s8, 0xffff
	s_waitcnt lgkmcnt(0)
	v_pk_add_f16 v10, v12, v9 neg_lo:[0,1] neg_hi:[0,1]
	v_pk_add_f16 v9, v9, v12
	v_bfi_b32 v11, s8, v10, v9
	v_bfi_b32 v9, s8, v9, v10
	v_pk_mul_f16 v10, v11, 0.5 op_sel_hi:[1,0]
	v_pk_mul_f16 v11, v9, 0.5 op_sel_hi:[1,0]
	s_waitcnt vmcnt(0)
	v_pk_mul_f16 v12, v7, v10 op_sel:[1,0]
	v_pk_mul_f16 v7, v7, v10 op_sel_hi:[0,1]
	v_pk_fma_f16 v9, v9, 0.5, v12 op_sel_hi:[1,0,1]
	v_sub_f16_e32 v10, v11, v12
	v_sub_f16_sdwa v11, v12, v11 dst_sel:DWORD dst_unused:UNUSED_PAD src0_sel:WORD_1 src1_sel:WORD_1
	v_pk_add_f16 v12, v9, v7 op_sel:[0,1] op_sel_hi:[1,0]
	v_pk_add_f16 v13, v9, v7 op_sel:[0,1] op_sel_hi:[1,0] neg_lo:[0,1] neg_hi:[0,1]
	v_sub_f16_sdwa v9, v10, v7 dst_sel:DWORD dst_unused:UNUSED_PAD src0_sel:DWORD src1_sel:WORD_1
	v_sub_f16_e32 v10, v11, v7
	v_mov_b32_e32 v7, v6
	v_bfi_b32 v11, s8, v12, v13
	v_mov_b32_e32 v6, v5
                                        ; implicit-def: $vgpr12
.LBB0_21:
	s_andn2_saveexec_b64 s[4:5], s[4:5]
	s_cbranch_execz .LBB0_23
; %bb.22:
	v_mov_b32_e32 v10, 0
	ds_read_u16 v11, v10 offset:2862
	s_waitcnt lgkmcnt(1)
	v_alignbit_b32 v13, s0, v12, 16
	v_sub_f16_sdwa v9, v12, v12 dst_sel:DWORD dst_unused:UNUSED_PAD src0_sel:DWORD src1_sel:WORD_1
	v_mov_b32_e32 v6, 0
	v_pk_add_f16 v12, v13, v12
	s_waitcnt lgkmcnt(0)
	v_xor_b32_e32 v11, 0x8000, v11
	v_mov_b32_e32 v7, 0
	ds_write_b16 v10, v11 offset:2862
	v_pack_b32_f16 v11, v12, 0
.LBB0_23:
	s_or_b64 exec, exec, s[4:5]
	v_lshlrev_b64 v[6:7], 2, v[6:7]
	s_waitcnt lgkmcnt(0)
	v_mov_b32_e32 v12, s7
	v_add_co_u32_e32 v6, vcc, s6, v6
	v_addc_co_u32_e32 v7, vcc, v12, v7, vcc
	global_load_dword v12, v[6:7], off offset:572
	global_load_dword v13, v[6:7], off offset:1144
	;; [unrolled: 1-line block ×3, first 2 shown]
	ds_write_b16 v8, v10 offset:5722
	ds_write_b32 v0, v11
	ds_write_b16 v8, v9 offset:5720
	ds_read_b32 v9, v0 offset:572
	ds_read_b32 v10, v8 offset:5148
	global_load_dword v6, v[6:7], off offset:2288
	s_mov_b32 s4, 0xffff
	s_waitcnt lgkmcnt(0)
	v_pk_add_f16 v7, v9, v10 neg_lo:[0,1] neg_hi:[0,1]
	v_pk_add_f16 v9, v9, v10
	v_bfi_b32 v10, s4, v7, v9
	v_bfi_b32 v7, s4, v9, v7
	v_pk_mul_f16 v9, v10, 0.5 op_sel_hi:[1,0]
	v_pk_mul_f16 v10, v7, 0.5 op_sel_hi:[1,0]
	s_waitcnt vmcnt(3)
	v_pk_mul_f16 v11, v12, v9 op_sel:[1,0]
	v_pk_mul_f16 v9, v12, v9 op_sel_hi:[0,1]
	v_pk_fma_f16 v7, v7, 0.5, v11 op_sel_hi:[1,0,1]
	v_sub_f16_e32 v12, v10, v11
	v_sub_f16_sdwa v10, v11, v10 dst_sel:DWORD dst_unused:UNUSED_PAD src0_sel:WORD_1 src1_sel:WORD_1
	v_pk_add_f16 v11, v7, v9 op_sel:[0,1] op_sel_hi:[1,0]
	v_pk_add_f16 v7, v7, v9 op_sel:[0,1] op_sel_hi:[1,0] neg_lo:[0,1] neg_hi:[0,1]
	v_sub_f16_sdwa v12, v12, v9 dst_sel:DWORD dst_unused:UNUSED_PAD src0_sel:DWORD src1_sel:WORD_1
	v_sub_f16_e32 v9, v10, v9
	v_bfi_b32 v7, s4, v11, v7
	ds_write_b16 v8, v9 offset:5150
	ds_write_b32 v0, v7 offset:572
	ds_write_b16 v8, v12 offset:5148
	ds_read_b32 v7, v0 offset:1144
	ds_read_b32 v9, v8 offset:4576
	s_waitcnt lgkmcnt(0)
	v_pk_add_f16 v10, v7, v9 neg_lo:[0,1] neg_hi:[0,1]
	v_pk_add_f16 v7, v7, v9
	v_bfi_b32 v9, s4, v10, v7
	v_bfi_b32 v7, s4, v7, v10
	v_pk_mul_f16 v9, v9, 0.5 op_sel_hi:[1,0]
	v_pk_mul_f16 v7, v7, 0.5 op_sel_hi:[1,0]
	s_waitcnt vmcnt(2)
	v_pk_fma_f16 v10, v13, v9, v7 op_sel:[1,0,0]
	v_pk_mul_f16 v11, v13, v9 op_sel_hi:[0,1]
	v_pk_fma_f16 v12, v13, v9, v7 op_sel:[1,0,0] neg_lo:[1,0,0] neg_hi:[1,0,0]
	v_pk_fma_f16 v7, v13, v9, v7 op_sel:[1,0,0] neg_lo:[0,0,1] neg_hi:[0,0,1]
	v_pk_add_f16 v9, v10, v11 op_sel:[0,1] op_sel_hi:[1,0]
	v_pk_add_f16 v10, v10, v11 op_sel:[0,1] op_sel_hi:[1,0] neg_lo:[0,1] neg_hi:[0,1]
	v_pk_add_f16 v12, v12, v11 op_sel:[0,1] op_sel_hi:[1,0] neg_lo:[0,1] neg_hi:[0,1]
	v_pk_add_f16 v7, v7, v11 op_sel:[0,1] op_sel_hi:[1,0] neg_lo:[0,1] neg_hi:[0,1]
	v_bfi_b32 v9, s4, v9, v10
	v_bfi_b32 v7, s4, v12, v7
	ds_write_b32 v0, v9 offset:1144
	ds_write_b32 v8, v7 offset:4576
	ds_read_b32 v7, v0 offset:1716
	ds_read_b32 v9, v8 offset:4004
	s_waitcnt lgkmcnt(0)
	v_pk_add_f16 v10, v7, v9 neg_lo:[0,1] neg_hi:[0,1]
	v_pk_add_f16 v7, v7, v9
	v_bfi_b32 v9, s4, v10, v7
	v_bfi_b32 v7, s4, v7, v10
	v_pk_mul_f16 v9, v9, 0.5 op_sel_hi:[1,0]
	v_pk_mul_f16 v7, v7, 0.5 op_sel_hi:[1,0]
	s_waitcnt vmcnt(1)
	v_pk_fma_f16 v10, v14, v9, v7 op_sel:[1,0,0]
	v_pk_mul_f16 v11, v14, v9 op_sel_hi:[0,1]
	v_pk_fma_f16 v12, v14, v9, v7 op_sel:[1,0,0] neg_lo:[1,0,0] neg_hi:[1,0,0]
	v_pk_fma_f16 v7, v14, v9, v7 op_sel:[1,0,0] neg_lo:[0,0,1] neg_hi:[0,0,1]
	v_pk_add_f16 v9, v10, v11 op_sel:[0,1] op_sel_hi:[1,0]
	v_pk_add_f16 v10, v10, v11 op_sel:[0,1] op_sel_hi:[1,0] neg_lo:[0,1] neg_hi:[0,1]
	v_pk_add_f16 v12, v12, v11 op_sel:[0,1] op_sel_hi:[1,0] neg_lo:[0,1] neg_hi:[0,1]
	v_pk_add_f16 v7, v7, v11 op_sel:[0,1] op_sel_hi:[1,0] neg_lo:[0,1] neg_hi:[0,1]
	v_bfi_b32 v9, s4, v9, v10
	v_bfi_b32 v7, s4, v12, v7
	ds_write_b32 v0, v9 offset:1716
	ds_write_b32 v8, v7 offset:4004
	;; [unrolled: 22-line block ×3, first 2 shown]
	s_waitcnt lgkmcnt(0)
	s_barrier
	s_and_saveexec_b64 s[4:5], s[0:1]
	s_cbranch_execz .LBB0_26
; %bb.24:
	v_mul_lo_u32 v0, s3, v3
	v_mul_lo_u32 v6, s2, v4
	v_mad_u64_u32 v[3:4], s[0:1], s2, v3, 0
	v_lshlrev_b64 v[1:2], 2, v[1:2]
	v_lshl_add_u32 v9, v5, 2, 0
	v_add3_u32 v4, v4, v6, v0
	v_lshlrev_b64 v[3:4], 2, v[3:4]
	v_mov_b32_e32 v0, s11
	v_add_co_u32_e32 v3, vcc, s10, v3
	v_addc_co_u32_e32 v0, vcc, v0, v4, vcc
	v_mov_b32_e32 v6, 0
	ds_read2_b32 v[7:8], v9 offset1:143
	v_add_co_u32_e32 v1, vcc, v3, v1
	v_addc_co_u32_e32 v0, vcc, v0, v2, vcc
	v_lshlrev_b64 v[2:3], 2, v[5:6]
	v_add_u32_e32 v4, 0x400, v9
	v_add_co_u32_e32 v2, vcc, v1, v2
	v_addc_co_u32_e32 v3, vcc, v0, v3, vcc
	s_waitcnt lgkmcnt(0)
	global_store_dword v[2:3], v7, off
	v_add_u32_e32 v2, 0x8f, v5
	v_mov_b32_e32 v3, v6
	v_lshlrev_b64 v[2:3], 2, v[2:3]
	s_movk_i32 s0, 0x8e
	v_add_co_u32_e32 v2, vcc, v1, v2
	v_addc_co_u32_e32 v3, vcc, v0, v3, vcc
	global_store_dword v[2:3], v8, off
	v_add_u32_e32 v2, 0x11e, v5
	v_mov_b32_e32 v3, v6
	ds_read2_b32 v[7:8], v4 offset0:30 offset1:173
	v_lshlrev_b64 v[2:3], 2, v[2:3]
	v_add_u32_e32 v4, 0x800, v9
	v_add_co_u32_e32 v2, vcc, v1, v2
	v_addc_co_u32_e32 v3, vcc, v0, v3, vcc
	s_waitcnt lgkmcnt(0)
	global_store_dword v[2:3], v7, off
	v_add_u32_e32 v2, 0x1ad, v5
	v_mov_b32_e32 v3, v6
	v_lshlrev_b64 v[2:3], 2, v[2:3]
	v_add_co_u32_e32 v2, vcc, v1, v2
	v_addc_co_u32_e32 v3, vcc, v0, v3, vcc
	global_store_dword v[2:3], v8, off
	v_add_u32_e32 v2, 0x23c, v5
	v_mov_b32_e32 v3, v6
	ds_read2_b32 v[7:8], v4 offset0:60 offset1:203
	v_lshlrev_b64 v[2:3], 2, v[2:3]
	v_add_u32_e32 v4, 0xc00, v9
	v_add_co_u32_e32 v2, vcc, v1, v2
	v_addc_co_u32_e32 v3, vcc, v0, v3, vcc
	s_waitcnt lgkmcnt(0)
	global_store_dword v[2:3], v7, off
	v_add_u32_e32 v2, 0x2cb, v5
	v_mov_b32_e32 v3, v6
	v_lshlrev_b64 v[2:3], 2, v[2:3]
	;; [unrolled: 15-line block ×3, first 2 shown]
	v_add_co_u32_e32 v2, vcc, v1, v2
	v_addc_co_u32_e32 v3, vcc, v0, v3, vcc
	global_store_dword v[2:3], v8, off
	v_add_u32_e32 v2, 0x478, v5
	v_mov_b32_e32 v3, v6
	ds_read2_b32 v[7:8], v4 offset0:56 offset1:199
	v_lshlrev_b64 v[2:3], 2, v[2:3]
	v_add_co_u32_e32 v2, vcc, v1, v2
	v_addc_co_u32_e32 v3, vcc, v0, v3, vcc
	s_waitcnt lgkmcnt(0)
	global_store_dword v[2:3], v7, off
	v_add_u32_e32 v2, 0x507, v5
	v_mov_b32_e32 v3, v6
	v_lshlrev_b64 v[2:3], 2, v[2:3]
	v_add_co_u32_e32 v2, vcc, v1, v2
	v_addc_co_u32_e32 v3, vcc, v0, v3, vcc
	v_cmp_eq_u32_e32 vcc, s0, v5
	global_store_dword v[2:3], v8, off
	s_and_b64 exec, exec, vcc
	s_cbranch_execz .LBB0_26
; %bb.25:
	ds_read_b32 v3, v6 offset:5720
	v_add_co_u32_e32 v1, vcc, 0x1000, v1
	v_addc_co_u32_e32 v2, vcc, 0, v0, vcc
	s_waitcnt lgkmcnt(0)
	global_store_dword v[1:2], v3, off offset:1624
.LBB0_26:
	s_endpgm
	.section	.rodata,"a",@progbits
	.p2align	6, 0x0
	.amdhsa_kernel fft_rtc_fwd_len1430_factors_13_11_10_wgs_143_tpt_143_half_op_CI_CI_unitstride_sbrr_R2C_dirReg
		.amdhsa_group_segment_fixed_size 0
		.amdhsa_private_segment_fixed_size 0
		.amdhsa_kernarg_size 104
		.amdhsa_user_sgpr_count 6
		.amdhsa_user_sgpr_private_segment_buffer 1
		.amdhsa_user_sgpr_dispatch_ptr 0
		.amdhsa_user_sgpr_queue_ptr 0
		.amdhsa_user_sgpr_kernarg_segment_ptr 1
		.amdhsa_user_sgpr_dispatch_id 0
		.amdhsa_user_sgpr_flat_scratch_init 0
		.amdhsa_user_sgpr_private_segment_size 0
		.amdhsa_uses_dynamic_stack 0
		.amdhsa_system_sgpr_private_segment_wavefront_offset 0
		.amdhsa_system_sgpr_workgroup_id_x 1
		.amdhsa_system_sgpr_workgroup_id_y 0
		.amdhsa_system_sgpr_workgroup_id_z 0
		.amdhsa_system_sgpr_workgroup_info 0
		.amdhsa_system_vgpr_workitem_id 0
		.amdhsa_next_free_vgpr 92
		.amdhsa_next_free_sgpr 28
		.amdhsa_reserve_vcc 1
		.amdhsa_reserve_flat_scratch 0
		.amdhsa_float_round_mode_32 0
		.amdhsa_float_round_mode_16_64 0
		.amdhsa_float_denorm_mode_32 3
		.amdhsa_float_denorm_mode_16_64 3
		.amdhsa_dx10_clamp 1
		.amdhsa_ieee_mode 1
		.amdhsa_fp16_overflow 0
		.amdhsa_exception_fp_ieee_invalid_op 0
		.amdhsa_exception_fp_denorm_src 0
		.amdhsa_exception_fp_ieee_div_zero 0
		.amdhsa_exception_fp_ieee_overflow 0
		.amdhsa_exception_fp_ieee_underflow 0
		.amdhsa_exception_fp_ieee_inexact 0
		.amdhsa_exception_int_div_zero 0
	.end_amdhsa_kernel
	.text
.Lfunc_end0:
	.size	fft_rtc_fwd_len1430_factors_13_11_10_wgs_143_tpt_143_half_op_CI_CI_unitstride_sbrr_R2C_dirReg, .Lfunc_end0-fft_rtc_fwd_len1430_factors_13_11_10_wgs_143_tpt_143_half_op_CI_CI_unitstride_sbrr_R2C_dirReg
                                        ; -- End function
	.section	.AMDGPU.csdata,"",@progbits
; Kernel info:
; codeLenInByte = 10208
; NumSgprs: 32
; NumVgprs: 92
; ScratchSize: 0
; MemoryBound: 0
; FloatMode: 240
; IeeeMode: 1
; LDSByteSize: 0 bytes/workgroup (compile time only)
; SGPRBlocks: 3
; VGPRBlocks: 22
; NumSGPRsForWavesPerEU: 32
; NumVGPRsForWavesPerEU: 92
; Occupancy: 2
; WaveLimiterHint : 1
; COMPUTE_PGM_RSRC2:SCRATCH_EN: 0
; COMPUTE_PGM_RSRC2:USER_SGPR: 6
; COMPUTE_PGM_RSRC2:TRAP_HANDLER: 0
; COMPUTE_PGM_RSRC2:TGID_X_EN: 1
; COMPUTE_PGM_RSRC2:TGID_Y_EN: 0
; COMPUTE_PGM_RSRC2:TGID_Z_EN: 0
; COMPUTE_PGM_RSRC2:TIDIG_COMP_CNT: 0
	.type	__hip_cuid_1d60fcf07d1317f3,@object ; @__hip_cuid_1d60fcf07d1317f3
	.section	.bss,"aw",@nobits
	.globl	__hip_cuid_1d60fcf07d1317f3
__hip_cuid_1d60fcf07d1317f3:
	.byte	0                               ; 0x0
	.size	__hip_cuid_1d60fcf07d1317f3, 1

	.ident	"AMD clang version 19.0.0git (https://github.com/RadeonOpenCompute/llvm-project roc-6.4.0 25133 c7fe45cf4b819c5991fe208aaa96edf142730f1d)"
	.section	".note.GNU-stack","",@progbits
	.addrsig
	.addrsig_sym __hip_cuid_1d60fcf07d1317f3
	.amdgpu_metadata
---
amdhsa.kernels:
  - .args:
      - .actual_access:  read_only
        .address_space:  global
        .offset:         0
        .size:           8
        .value_kind:     global_buffer
      - .offset:         8
        .size:           8
        .value_kind:     by_value
      - .actual_access:  read_only
        .address_space:  global
        .offset:         16
        .size:           8
        .value_kind:     global_buffer
      - .actual_access:  read_only
        .address_space:  global
        .offset:         24
        .size:           8
        .value_kind:     global_buffer
      - .actual_access:  read_only
        .address_space:  global
        .offset:         32
        .size:           8
        .value_kind:     global_buffer
      - .offset:         40
        .size:           8
        .value_kind:     by_value
      - .actual_access:  read_only
        .address_space:  global
        .offset:         48
        .size:           8
        .value_kind:     global_buffer
      - .actual_access:  read_only
        .address_space:  global
        .offset:         56
        .size:           8
        .value_kind:     global_buffer
      - .offset:         64
        .size:           4
        .value_kind:     by_value
      - .actual_access:  read_only
        .address_space:  global
        .offset:         72
        .size:           8
        .value_kind:     global_buffer
      - .actual_access:  read_only
        .address_space:  global
        .offset:         80
        .size:           8
        .value_kind:     global_buffer
      - .actual_access:  read_only
        .address_space:  global
        .offset:         88
        .size:           8
        .value_kind:     global_buffer
      - .actual_access:  write_only
        .address_space:  global
        .offset:         96
        .size:           8
        .value_kind:     global_buffer
    .group_segment_fixed_size: 0
    .kernarg_segment_align: 8
    .kernarg_segment_size: 104
    .language:       OpenCL C
    .language_version:
      - 2
      - 0
    .max_flat_workgroup_size: 143
    .name:           fft_rtc_fwd_len1430_factors_13_11_10_wgs_143_tpt_143_half_op_CI_CI_unitstride_sbrr_R2C_dirReg
    .private_segment_fixed_size: 0
    .sgpr_count:     32
    .sgpr_spill_count: 0
    .symbol:         fft_rtc_fwd_len1430_factors_13_11_10_wgs_143_tpt_143_half_op_CI_CI_unitstride_sbrr_R2C_dirReg.kd
    .uniform_work_group_size: 1
    .uses_dynamic_stack: false
    .vgpr_count:     92
    .vgpr_spill_count: 0
    .wavefront_size: 64
amdhsa.target:   amdgcn-amd-amdhsa--gfx906
amdhsa.version:
  - 1
  - 2
...

	.end_amdgpu_metadata
